;; amdgpu-corpus repo=ROCm/rocFFT kind=compiled arch=gfx1201 opt=O3
	.text
	.amdgcn_target "amdgcn-amd-amdhsa--gfx1201"
	.amdhsa_code_object_version 6
	.protected	fft_rtc_back_len169_factors_13_13_wgs_156_tpt_13_dp_op_CI_CI_sbrc_erc_z_xy_aligned ; -- Begin function fft_rtc_back_len169_factors_13_13_wgs_156_tpt_13_dp_op_CI_CI_sbrc_erc_z_xy_aligned
	.globl	fft_rtc_back_len169_factors_13_13_wgs_156_tpt_13_dp_op_CI_CI_sbrc_erc_z_xy_aligned
	.p2align	8
	.type	fft_rtc_back_len169_factors_13_13_wgs_156_tpt_13_dp_op_CI_CI_sbrc_erc_z_xy_aligned,@function
fft_rtc_back_len169_factors_13_13_wgs_156_tpt_13_dp_op_CI_CI_sbrc_erc_z_xy_aligned: ; @fft_rtc_back_len169_factors_13_13_wgs_156_tpt_13_dp_op_CI_CI_sbrc_erc_z_xy_aligned
; %bb.0:
	s_load_b256 s[4:11], s[0:1], 0x0
	v_add_nc_u16 v5, v0, 0x9c
	v_add_nc_u16 v7, v0, 0x1d4
	v_mul_u32_u24_e32 v2, 0x184, v0
	v_add_nc_u16 v8, v0, 0x138
	v_mov_b32_e32 v21, 0
	s_mov_b32 s19, 0
	v_and_b32_e32 v3, 0xffff, v7
	v_lshrrev_b32_e32 v4, 16, v2
	v_and_b32_e32 v2, 0xffff, v8
	s_mov_b32 s17, s19
	v_add_nc_u16 v41, v0, 0x57c
	v_mul_u32_u24_e32 v10, 0x184, v3
	v_mul_lo_u16 v6, 0xa9, v4
	v_mul_u32_u24_e32 v2, 0x184, v2
	v_add_nc_u16 v42, v0, 0x6b4
	s_mov_b32 s52, 0x4267c47c
	s_mov_b32 s24, 0x42a4c3d2
	v_sub_nc_u16 v6, v0, v6
	s_mov_b32 s53, 0xbfddbe06
	s_wait_kmcnt 0x0
	s_load_b128 s[12:15], s[8:9], 0x8
	s_mov_b32 s25, 0xbfea55e2
	s_mov_b32 s38, 0xe00740e9
	v_and_b32_e32 v6, 0xffff, v6
	s_mov_b32 s36, 0x1ea71119
	s_mov_b32 s34, 0xebaa3ed8
	;; [unrolled: 1-line block ×16, first 2 shown]
	s_wait_kmcnt 0x0
	s_add_co_i32 s2, s12, -1
	s_mov_b32 s51, 0x3fcea1e5
	s_mul_hi_u32 s2, s2, 0xaaaaaaab
	s_mov_b32 s40, s52
	s_lshr_b32 s2, s2, 3
	s_mov_b32 s48, s24
	s_add_co_i32 s3, s2, 1
	s_load_b64 s[22:23], s[0:1], 0x20
	s_mul_i32 s8, s3, s14
	s_cvt_f32_u32 s12, s3
	s_cvt_f32_u32 s9, s8
	s_sub_co_i32 s13, 0, s8
	s_delay_alu instid0(SALU_CYCLE_1) | instskip(NEXT) | instid1(SALU_CYCLE_1)
	v_rcp_iflag_f32_e32 v9, s12
	v_rcp_iflag_f32_e32 v1, s9
	s_delay_alu instid0(TRANS32_DEP_1) | instskip(SKIP_1) | instid1(VALU_DEP_2)
	v_readfirstlane_b32 s9, v1
	v_and_b32_e32 v1, 0xffff, v5
	s_mul_f32 s9, s9, 0x4f7ffffe
	s_delay_alu instid0(VALU_DEP_1) | instskip(SKIP_1) | instid1(SALU_CYCLE_1)
	v_mul_u32_u24_e32 v1, 0x184, v1
	s_wait_alu 0xfffe
	s_cvt_u32_f32 s9, s9
	s_delay_alu instid0(VALU_DEP_1)
	v_lshrrev_b32_e32 v3, 16, v1
	v_lshrrev_b32_e32 v1, 16, v2
	s_wait_alu 0xfffe
	s_mul_i32 s13, s13, s9
	v_lshrrev_b32_e32 v2, 16, v10
	s_wait_alu 0xfffe
	s_mul_hi_u32 s12, s9, s13
	v_readfirstlane_b32 s13, v9
	s_wait_alu 0xfffe
	s_add_co_i32 s9, s9, s12
	v_mul_lo_u16 v9, 0xa9, v3
	s_wait_alu 0xfffe
	s_mul_hi_u32 s9, ttmp9, s9
	v_mul_lo_u16 v16, 0xa9, v1
	s_wait_alu 0xfffe
	s_mul_i32 s12, s9, s8
	s_add_co_i32 s14, s9, 1
	s_wait_alu 0xfffe
	s_sub_co_i32 s12, ttmp9, s12
	s_mul_f32 s13, s13, 0x4f7ffffe
	s_wait_alu 0xfffe
	s_sub_co_i32 s15, s12, s8
	s_cmp_ge_u32 s12, s8
	v_sub_nc_u16 v5, v5, v9
	s_cselect_b32 s9, s14, s9
	s_cselect_b32 s12, s15, s12
	s_wait_alu 0xfffe
	s_add_co_i32 s14, s9, 1
	s_cmp_ge_u32 s12, s8
	s_cvt_u32_f32 s12, s13
	s_cselect_b32 s16, s14, s9
	s_not_b32 s2, s2
	s_mul_i32 s8, s16, s8
	s_wait_alu 0xfffe
	s_mul_i32 s2, s2, s12
	s_sub_co_i32 s8, ttmp9, s8
	s_mul_hi_u32 s2, s12, s2
	v_and_b32_e32 v5, 0xffff, v5
	s_add_co_i32 s2, s12, s2
	s_load_b128 s[12:15], s[10:11], 0x0
	s_mul_hi_u32 s9, s8, s2
	s_mul_hi_u32 s2, ttmp9, s2
	s_wait_alu 0xfffe
	s_mul_i32 s18, s9, s3
	s_mul_i32 s2, s2, s3
	s_sub_co_i32 s8, s8, s18
	s_add_co_i32 s18, s9, 1
	s_wait_alu 0xfffe
	s_sub_co_i32 s20, s8, s3
	s_cmp_ge_u32 s8, s3
	v_sub_nc_u16 v19, v8, v16
	s_cselect_b32 s9, s18, s9
	s_cselect_b32 s8, s20, s8
	s_wait_alu 0xfffe
	s_add_co_i32 s18, s9, 1
	s_cmp_ge_u32 s8, s3
	v_mul_lo_u16 v18, 0xa9, v2
	s_cselect_b32 s33, s18, s9
	s_sub_co_i32 s2, ttmp9, s2
	v_and_b32_e32 v35, 0xffff, v19
	s_sub_co_i32 s8, s2, s3
	s_cmp_ge_u32 s2, s3
	v_sub_nc_u16 v7, v7, v18
	s_wait_alu 0xfffe
	s_cselect_b32 s2, s8, s2
	s_delay_alu instid0(SALU_CYCLE_1)
	s_sub_co_i32 s8, s2, s3
	s_cmp_ge_u32 s2, s3
	v_and_b32_e32 v36, 0xffff, v7
	s_wait_alu 0xfffe
	s_cselect_b32 s18, s8, s2
	s_lshl_b64 s[20:21], s[6:7], 3
	s_mul_i32 s6, s18, 12
	s_add_nc_u64 s[2:3], s[10:11], s[20:21]
	s_load_b64 s[2:3], s[2:3], 0x0
	s_wait_kmcnt 0x0
	s_load_b32 s15, s[10:11], 0x10
	v_mad_co_u64_u32 v[9:10], null, s12, v6, 0
	v_mad_co_u64_u32 v[11:12], null, s12, v5, 0
	s_load_b128 s[8:11], s[0:1], 0x58
	v_mul_lo_u32 v20, s14, v4
	v_mad_co_u64_u32 v[18:19], null, s12, v36, 0
	v_mul_u32_u24_e32 v4, 0xaa0, v4
	s_delay_alu instid0(VALU_DEP_4) | instskip(NEXT) | instid1(VALU_DEP_4)
	v_mad_co_u64_u32 v[13:14], null, s13, v6, v[10:11]
	v_lshlrev_b64_e32 v[14:15], 4, v[20:21]
	v_mul_lo_u32 v20, s14, v3
	v_mul_u32_u24_e32 v3, 0xaa0, v3
	s_delay_alu instid0(VALU_DEP_4)
	v_mov_b32_e32 v10, v13
	s_wait_kmcnt 0x0
	s_mul_i32 s7, s33, s15
	s_mul_i32 s15, s6, s14
	s_mul_u64 s[0:1], s[2:3], s[16:17]
	s_wait_alu 0xfffe
	s_add_co_i32 s18, s15, s7
	v_lshlrev_b64_e32 v[8:9], 4, v[9:10]
	s_lshl_b64 s[0:1], s[0:1], 4
	v_mad_co_u64_u32 v[12:13], null, s13, v5, v[12:13]
	s_lshl_b64 s[2:3], s[18:19], 4
	s_add_nc_u64 s[0:1], s[8:9], s[0:1]
	v_lshlrev_b64_e32 v[16:17], 4, v[20:21]
	s_add_nc_u64 s[0:1], s[0:1], s[2:3]
	v_lshlrev_b32_e32 v5, 4, v5
	v_add_co_u32 v10, vcc_lo, s0, v8
	v_add_co_ci_u32_e32 v13, vcc_lo, s1, v9, vcc_lo
	v_lshlrev_b64_e32 v[8:9], 4, v[11:12]
	s_delay_alu instid0(VALU_DEP_3) | instskip(SKIP_1) | instid1(VALU_DEP_3)
	v_add_co_u32 v10, vcc_lo, v10, v14
	s_wait_alu 0xfffd
	v_add_co_ci_u32_e32 v11, vcc_lo, v13, v15, vcc_lo
	v_add3_u32 v3, 0, v3, v5
	s_delay_alu instid0(VALU_DEP_4)
	v_add_co_u32 v12, vcc_lo, s0, v8
	s_wait_alu 0xfffd
	v_add_co_ci_u32_e32 v13, vcc_lo, s1, v9, vcc_lo
	global_load_b128 v[8:11], v[10:11], off
	v_add_co_u32 v12, vcc_lo, v12, v16
	s_wait_alu 0xfffd
	v_add_co_ci_u32_e32 v13, vcc_lo, v13, v17, vcc_lo
	v_mad_co_u64_u32 v[16:17], null, s12, v35, 0
	s_add_nc_u64 s[8:9], s[22:23], s[20:21]
	global_load_b128 v[12:15], v[12:13], off
	s_mov_b32 s20, 0x2ef20147
	s_mov_b32 s21, 0xbfedeba7
	;; [unrolled: 1-line block ×4, first 2 shown]
	v_mov_b32_e32 v7, v17
	v_dual_mov_b32 v17, v19 :: v_dual_lshlrev_b32 v6, 4, v6
	s_delay_alu instid0(VALU_DEP_1) | instskip(NEXT) | instid1(VALU_DEP_2)
	v_mad_co_u64_u32 v[22:23], null, s13, v36, v[17:18]
	v_add3_u32 v4, 0, v4, v6
	v_add_nc_u16 v6, v0, 0x618
	s_wait_loadcnt 0x1
	v_mad_co_u64_u32 v[19:20], null, s13, v35, v[7:8]
	v_mul_lo_u32 v20, s14, v1
	v_mul_u32_u24_e32 v1, 0xaa0, v1
	s_delay_alu instid0(VALU_DEP_3) | instskip(NEXT) | instid1(VALU_DEP_3)
	v_mov_b32_e32 v17, v19
	v_lshlrev_b64_e32 v[23:24], 4, v[20:21]
	v_mul_lo_u32 v20, s14, v2
	s_delay_alu instid0(VALU_DEP_3) | instskip(NEXT) | instid1(VALU_DEP_2)
	v_lshlrev_b64_e32 v[16:17], 4, v[16:17]
	v_lshlrev_b64_e32 v[25:26], 4, v[20:21]
	v_add_nc_u16 v20, v0, 0x30c
	s_delay_alu instid0(VALU_DEP_3) | instskip(SKIP_1) | instid1(VALU_DEP_4)
	v_add_co_u32 v7, vcc_lo, s0, v16
	s_wait_alu 0xfffd
	v_add_co_ci_u32_e32 v17, vcc_lo, s1, v17, vcc_lo
	s_delay_alu instid0(VALU_DEP_3) | instskip(NEXT) | instid1(VALU_DEP_1)
	v_and_b32_e32 v27, 0xffff, v20
	v_mul_u32_u24_e32 v27, 0xc1f, v27
	s_delay_alu instid0(VALU_DEP_1) | instskip(NEXT) | instid1(VALU_DEP_1)
	v_lshrrev_b32_e32 v38, 19, v27
	v_mul_lo_u16 v27, 0xa9, v38
	s_delay_alu instid0(VALU_DEP_1) | instskip(NEXT) | instid1(VALU_DEP_1)
	v_sub_nc_u16 v20, v20, v27
	v_dual_mov_b32 v19, v22 :: v_dual_and_b32 v40, 0xffff, v20
	s_delay_alu instid0(VALU_DEP_1) | instskip(NEXT) | instid1(VALU_DEP_2)
	v_lshlrev_b64_e32 v[18:19], 4, v[18:19]
	v_mad_co_u64_u32 v[28:29], null, s12, v40, 0
	s_delay_alu instid0(VALU_DEP_2) | instskip(SKIP_1) | instid1(VALU_DEP_3)
	v_add_co_u32 v18, vcc_lo, s0, v18
	s_wait_alu 0xfffd
	v_add_co_ci_u32_e32 v19, vcc_lo, s1, v19, vcc_lo
	v_add_co_u32 v16, vcc_lo, v7, v23
	s_wait_alu 0xfffd
	v_add_co_ci_u32_e32 v17, vcc_lo, v17, v24, vcc_lo
	;; [unrolled: 3-line block ×3, first 2 shown]
	s_clause 0x1
	global_load_b128 v[16:19], v[16:17], off
	global_load_b128 v[22:25], v[22:23], off
	v_add_nc_u16 v7, v0, 0x270
	s_delay_alu instid0(VALU_DEP_1) | instskip(NEXT) | instid1(VALU_DEP_1)
	v_and_b32_e32 v26, 0xffff, v7
	v_mul_u32_u24_e32 v26, 0x184, v26
	s_delay_alu instid0(VALU_DEP_1) | instskip(NEXT) | instid1(VALU_DEP_1)
	v_lshrrev_b32_e32 v37, 16, v26
	v_mul_lo_u16 v26, 0xa9, v37
	v_mul_lo_u32 v20, s14, v37
	s_delay_alu instid0(VALU_DEP_2) | instskip(NEXT) | instid1(VALU_DEP_1)
	v_sub_nc_u16 v7, v7, v26
	v_and_b32_e32 v39, 0xffff, v7
	s_delay_alu instid0(VALU_DEP_1) | instskip(NEXT) | instid1(VALU_DEP_1)
	v_mad_co_u64_u32 v[26:27], null, s12, v39, 0
	v_mov_b32_e32 v7, v27
	v_mov_b32_e32 v27, v29
	s_delay_alu instid0(VALU_DEP_2) | instskip(NEXT) | instid1(VALU_DEP_2)
	v_mad_co_u64_u32 v[29:30], null, s13, v39, v[7:8]
	v_mad_co_u64_u32 v[30:31], null, s13, v40, v[27:28]
	v_lshlrev_b64_e32 v[31:32], 4, v[20:21]
	v_mul_lo_u32 v20, s14, v38
	s_delay_alu instid0(VALU_DEP_4) | instskip(NEXT) | instid1(VALU_DEP_4)
	v_mov_b32_e32 v27, v29
	v_mov_b32_e32 v29, v30
	s_delay_alu instid0(VALU_DEP_2) | instskip(NEXT) | instid1(VALU_DEP_4)
	v_lshlrev_b64_e32 v[26:27], 4, v[26:27]
	v_lshlrev_b64_e32 v[33:34], 4, v[20:21]
	s_delay_alu instid0(VALU_DEP_3) | instskip(NEXT) | instid1(VALU_DEP_3)
	v_lshlrev_b64_e32 v[28:29], 4, v[28:29]
	v_add_co_u32 v7, vcc_lo, s0, v26
	s_wait_alu 0xfffd
	s_delay_alu instid0(VALU_DEP_4) | instskip(NEXT) | instid1(VALU_DEP_3)
	v_add_co_ci_u32_e32 v20, vcc_lo, s1, v27, vcc_lo
	v_add_co_u32 v28, vcc_lo, s0, v28
	s_wait_alu 0xfffd
	v_add_co_ci_u32_e32 v29, vcc_lo, s1, v29, vcc_lo
	v_add_co_u32 v26, vcc_lo, v7, v31
	s_wait_alu 0xfffd
	;; [unrolled: 3-line block ×3, first 2 shown]
	v_add_co_ci_u32_e32 v31, vcc_lo, v29, v34, vcc_lo
	s_clause 0x1
	global_load_b128 v[26:29], v[26:27], off
	global_load_b128 v[30:33], v[30:31], off
	v_add_nc_u16 v7, v0, 0x3a8
	v_add_nc_u16 v20, v0, 0x444
	;; [unrolled: 1-line block ×3, first 2 shown]
	ds_store_b128 v4, v[8:11]
	v_and_b32_e32 v11, 0xffff, v6
	v_add_nc_u16 v4, v0, 0x750
	v_and_b32_e32 v8, 0xffff, v7
	v_and_b32_e32 v5, 0xffff, v20
	;; [unrolled: 1-line block ×3, first 2 shown]
	s_wait_loadcnt 0x4
	ds_store_b128 v3, v[12:15]
	v_and_b32_e32 v3, 0xffff, v42
	v_mul_u32_u24_e32 v11, 0xc1f, v11
	v_and_b32_e32 v10, 0xffff, v41
	v_and_b32_e32 v12, 0xffff, v4
	v_mul_u32_u24_e32 v8, 0xc1f, v8
	v_mul_u32_u24_e32 v5, 0xc1f, v5
	;; [unrolled: 1-line block ×4, first 2 shown]
	v_lshrrev_b32_e32 v48, 19, v11
	v_mul_u32_u24_e32 v10, 0xc1f, v10
	v_mul_u32_u24_e32 v12, 0xc1f, v12
	v_lshrrev_b32_e32 v43, 19, v8
	v_lshrrev_b32_e32 v44, 19, v5
	;; [unrolled: 1-line block ×4, first 2 shown]
	v_mul_lo_u16 v9, 0xa9, v48
	v_lshrrev_b32_e32 v46, 19, v10
	v_mul_lo_u16 v5, 0xa9, v43
	v_mul_lo_u16 v3, 0xa9, v44
	v_lshrrev_b32_e32 v50, 19, v12
	v_mul_lo_u16 v10, 0xa9, v49
	v_mul_u32_u24_e32 v12, 0xaa0, v2
	v_sub_nc_u16 v2, v6, v9
	v_mul_lo_u16 v8, 0xa9, v45
	v_sub_nc_u16 v5, v7, v5
	v_mul_lo_u16 v7, 0xa9, v46
	;; [unrolled: 2-line block ×3, first 2 shown]
	v_sub_nc_u16 v6, v42, v10
	v_and_b32_e32 v42, 0xffff, v2
	v_lshlrev_b32_e32 v2, 4, v35
	v_sub_nc_u16 v8, v34, v8
	v_sub_nc_u16 v7, v41, v7
	v_mul_u32_u24_e32 v13, 0xaa0, v37
	v_sub_nc_u16 v34, v4, v11
	v_and_b32_e32 v9, 0xffff, v5
	v_and_b32_e32 v37, 0xffff, v3
	v_lshlrev_b32_e32 v3, 4, v36
	v_add3_u32 v4, 0, v1, v2
	v_and_b32_e32 v41, 0xffff, v7
	v_mad_co_u64_u32 v[1:2], null, s12, v9, 0
	s_delay_alu instid0(VALU_DEP_4)
	v_add3_u32 v7, 0, v12, v3
	v_lshlrev_b32_e32 v10, 4, v39
	v_lshlrev_b32_e32 v36, 4, v9
	v_mul_u32_u24_e32 v14, 0xaa0, v38
	v_and_b32_e32 v51, 0xffff, v6
	v_mul_u32_u24_e32 v15, 0xaa0, v43
	v_add3_u32 v39, 0, v13, v10
	v_lshlrev_b32_e32 v35, 4, v40
	v_mul_u32_u24_e32 v20, 0xaa0, v44
	v_and_b32_e32 v52, 0xffff, v34
	v_add3_u32 v36, 0, v15, v36
	v_lshlrev_b32_e32 v15, 4, v37
	v_add3_u32 v40, 0, v14, v35
	s_wait_loadcnt 0x3
	ds_store_b128 v4, v[16:19]
	v_mad_co_u64_u32 v[3:4], null, s12, v37, 0
	s_wait_loadcnt 0x2
	ds_store_b128 v7, v[22:25]
	v_mul_u32_u24_e32 v17, 0xaa0, v45
	v_mad_co_u64_u32 v[9:10], null, s13, v9, v[2:3]
	v_mad_co_u64_u32 v[10:11], null, s12, v42, 0
	v_and_b32_e32 v38, 0xffff, v8
	v_mad_co_u64_u32 v[7:8], null, s12, v41, 0
	s_delay_alu instid0(VALU_DEP_4) | instskip(NEXT) | instid1(VALU_DEP_3)
	v_mov_b32_e32 v2, v9
	v_mad_co_u64_u32 v[5:6], null, s12, v38, 0
	s_delay_alu instid0(VALU_DEP_2) | instskip(NEXT) | instid1(VALU_DEP_2)
	v_lshlrev_b64_e32 v[1:2], 4, v[1:2]
	v_mad_co_u64_u32 v[12:13], null, s13, v37, v[4:5]
	s_delay_alu instid0(VALU_DEP_3) | instskip(SKIP_3) | instid1(VALU_DEP_4)
	v_mov_b32_e32 v4, v6
	v_mov_b32_e32 v6, v8
	v_add3_u32 v37, 0, v20, v15
	v_mad_co_u64_u32 v[15:16], null, s12, v52, 0
	v_mad_co_u64_u32 v[8:9], null, s13, v38, v[4:5]
	v_dual_mov_b32 v9, v11 :: v_dual_mov_b32 v4, v12
	v_mad_co_u64_u32 v[11:12], null, s13, v41, v[6:7]
	v_lshlrev_b32_e32 v18, 4, v38
	s_delay_alu instid0(VALU_DEP_3) | instskip(SKIP_2) | instid1(VALU_DEP_4)
	v_mad_co_u64_u32 v[12:13], null, s13, v42, v[9:10]
	v_mad_co_u64_u32 v[13:14], null, s12, v51, 0
	v_mul_lo_u32 v20, s14, v43
	v_add3_u32 v38, 0, v17, v18
	v_mov_b32_e32 v6, v8
	v_dual_mov_b32 v8, v11 :: v_dual_mov_b32 v11, v12
	v_lshlrev_b64_e32 v[3:4], 4, v[3:4]
	v_mov_b32_e32 v9, v14
	s_delay_alu instid0(VALU_DEP_4)
	v_lshlrev_b64_e32 v[5:6], 4, v[5:6]
	v_lshlrev_b64_e32 v[22:23], 4, v[20:21]
	v_mul_lo_u32 v20, s14, v44
	v_lshlrev_b64_e32 v[7:8], 4, v[7:8]
	v_mad_co_u64_u32 v[17:18], null, s13, v51, v[9:10]
	v_mov_b32_e32 v9, v16
	s_delay_alu instid0(VALU_DEP_1) | instskip(SKIP_1) | instid1(VALU_DEP_4)
	v_mad_co_u64_u32 v[18:19], null, s13, v52, v[9:10]
	v_mul_u32_u24_e32 v9, 0x13b2, v0
	v_mov_b32_e32 v14, v17
	s_mov_b32 s12, 0x4bc48dbf
	s_mov_b32 s13, 0xbfcea1e5
	s_wait_alu 0xfffe
	s_mov_b32 s50, s12
	v_lshrrev_b32_e32 v43, 16, v9
	v_add_co_u32 v9, vcc_lo, s0, v1
	s_wait_alu 0xfffd
	v_add_co_ci_u32_e32 v12, vcc_lo, s1, v2, vcc_lo
	v_mov_b32_e32 v16, v18
	v_lshlrev_b64_e32 v[17:18], 4, v[20:21]
	v_mul_lo_u32 v20, s14, v45
	v_add_co_u32 v9, vcc_lo, v9, v22
	v_lshlrev_b64_e32 v[1:2], 4, v[10:11]
	s_wait_alu 0xfffd
	v_add_co_ci_u32_e32 v10, vcc_lo, v12, v23, vcc_lo
	v_add_co_u32 v19, vcc_lo, s0, v3
	s_wait_alu 0xfffd
	v_add_co_ci_u32_e32 v22, vcc_lo, s1, v4, vcc_lo
	v_lshlrev_b64_e32 v[11:12], 4, v[20:21]
	v_mul_lo_u32 v20, s14, v46
	v_lshlrev_b64_e32 v[3:4], 4, v[13:14]
	v_add_co_u32 v13, vcc_lo, v19, v17
	s_wait_alu 0xfffd
	v_add_co_ci_u32_e32 v14, vcc_lo, v22, v18, vcc_lo
	v_add_co_u32 v5, vcc_lo, s0, v5
	s_wait_alu 0xfffd
	v_add_co_ci_u32_e32 v6, vcc_lo, s1, v6, vcc_lo
	v_lshlrev_b64_e32 v[17:18], 4, v[20:21]
	v_mul_lo_u32 v20, s14, v48
	v_add_co_u32 v7, vcc_lo, s0, v7
	s_wait_alu 0xfffd
	v_add_co_ci_u32_e32 v8, vcc_lo, s1, v8, vcc_lo
	v_add_co_u32 v11, vcc_lo, v5, v11
	s_wait_alu 0xfffd
	v_add_co_ci_u32_e32 v12, vcc_lo, v6, v12, vcc_lo
	v_add_co_u32 v17, vcc_lo, v7, v17
	v_add_nc_u32_e32 v19, s6, v43
	s_wait_alu 0xfffd
	v_add_co_ci_u32_e32 v18, vcc_lo, v8, v18, vcc_lo
	v_lshlrev_b64_e32 v[5:6], 4, v[20:21]
	v_mul_lo_u32 v20, s14, v49
	v_add_co_u32 v8, vcc_lo, s0, v1
	s_wait_alu 0xfffd
	v_add_co_ci_u32_e32 v23, vcc_lo, s1, v2, vcc_lo
	v_mul_hi_u32 v7, 0xaaaaaaab, v19
	s_delay_alu instid0(VALU_DEP_3) | instskip(SKIP_1) | instid1(VALU_DEP_3)
	v_add_co_u32 v22, vcc_lo, v8, v5
	s_wait_alu 0xfffd
	v_add_co_ci_u32_e32 v23, vcc_lo, v23, v6, vcc_lo
	v_lshlrev_b64_e32 v[5:6], 4, v[20:21]
	v_mul_lo_u32 v20, s14, v50
	v_add_co_u32 v3, vcc_lo, s0, v3
	v_lshlrev_b64_e32 v[1:2], 4, v[15:16]
	s_wait_alu 0xfffd
	v_add_co_ci_u32_e32 v4, vcc_lo, s1, v4, vcc_lo
	v_lshrrev_b32_e32 v7, 3, v7
	v_add_co_u32 v24, vcc_lo, v3, v5
	s_wait_alu 0xfffd
	s_delay_alu instid0(VALU_DEP_3)
	v_add_co_ci_u32_e32 v25, vcc_lo, v4, v6, vcc_lo
	v_lshlrev_b64_e32 v[3:4], 4, v[20:21]
	v_mul_lo_u32 v7, v7, 12
	v_add_co_u32 v1, vcc_lo, s0, v1
	s_wait_alu 0xfffd
	v_add_co_ci_u32_e32 v2, vcc_lo, s1, v2, vcc_lo
	s_mov_b32 s14, 0x24c2f84
	s_delay_alu instid0(VALU_DEP_2) | instskip(SKIP_1) | instid1(VALU_DEP_2)
	v_add_co_u32 v34, vcc_lo, v1, v3
	s_wait_alu 0xfffd
	v_add_co_ci_u32_e32 v35, vcc_lo, v2, v4, vcc_lo
	v_sub_nc_u32_e32 v44, v19, v7
	s_clause 0x1
	global_load_b128 v[1:4], v[9:10], off
	global_load_b128 v[5:8], v[13:14], off
	s_wait_loadcnt 0x3
	ds_store_b128 v39, v[26:29]
	s_clause 0x1
	global_load_b128 v[9:12], v[11:12], off
	global_load_b128 v[13:16], v[17:18], off
	s_wait_loadcnt 0x4
	ds_store_b128 v40, v[30:33]
	s_clause 0x2
	global_load_b128 v[17:20], v[22:23], off
	global_load_b128 v[22:25], v[24:25], off
	;; [unrolled: 1-line block ×3, first 2 shown]
	v_mul_lo_u16 v30, v43, 13
	v_mul_u32_u24_e32 v31, 0xaa0, v46
	v_lshlrev_b32_e32 v33, 4, v41
	v_mul_u32_u24_e32 v34, 0xaa, v44
	v_lshlrev_b32_e32 v39, 4, v42
	v_sub_nc_u16 v30, v0, v30
	v_mul_u32_u24_e32 v32, 0xaa0, v49
	v_add3_u32 v31, 0, v31, v33
	v_lshlrev_b32_e32 v33, 4, v34
	v_mul_u32_u24_e32 v35, 0xaa0, v50
	v_and_b32_e32 v47, 0xffff, v30
	v_mul_u32_u24_e32 v30, 0xaa0, v48
	v_lshlrev_b32_e32 v40, 4, v51
	v_add_nc_u32_e32 v48, 0, v33
	v_lshlrev_b32_e32 v41, 4, v52
	v_lshlrev_b32_e32 v34, 4, v47
	s_clause 0x1
	s_load_b128 s[0:3], s[22:23], 0x0
	s_load_b64 s[8:9], s[8:9], 0x0
	v_add3_u32 v30, 0, v30, v39
	s_wait_kmcnt 0x0
	s_load_b32 s3, s[22:23], 0x10
	v_add_nc_u32_e32 v46, v48, v34
	v_add3_u32 v82, 0, v34, v33
	v_add3_u32 v32, 0, v32, v40
	;; [unrolled: 1-line block ×3, first 2 shown]
	s_mov_b32 s22, 0x66966769
	s_mov_b32 s23, 0xbfefc445
	;; [unrolled: 1-line block ×5, first 2 shown]
	s_wait_loadcnt 0x6
	ds_store_b128 v36, v[1:4]
	s_wait_loadcnt 0x5
	ds_store_b128 v37, v[5:8]
	;; [unrolled: 2-line block ×7, first 2 shown]
	global_wb scope:SCOPE_SE
	s_wait_dscnt 0x0
	s_wait_kmcnt 0x0
	s_barrier_signal -1
	s_barrier_wait -1
	global_inv scope:SCOPE_SE
	ds_load_b128 v[1:4], v46
	ds_load_b128 v[5:8], v82 offset:208
	ds_load_b128 v[9:12], v82 offset:416
	;; [unrolled: 1-line block ×3, first 2 shown]
	s_wait_dscnt 0x2
	v_add_f64_e32 v[17:18], v[1:2], v[5:6]
	v_add_f64_e32 v[19:20], v[3:4], v[7:8]
	s_wait_dscnt 0x1
	s_delay_alu instid0(VALU_DEP_2) | instskip(NEXT) | instid1(VALU_DEP_2)
	v_add_f64_e32 v[17:18], v[17:18], v[9:10]
	v_add_f64_e32 v[19:20], v[19:20], v[11:12]
	s_wait_dscnt 0x0
	s_delay_alu instid0(VALU_DEP_2) | instskip(NEXT) | instid1(VALU_DEP_2)
	v_add_f64_e32 v[22:23], v[17:18], v[13:14]
	v_add_f64_e32 v[24:25], v[19:20], v[15:16]
	ds_load_b128 v[17:20], v82 offset:832
	ds_load_b128 v[36:39], v82 offset:1040
	;; [unrolled: 1-line block ×4, first 2 shown]
	s_wait_dscnt 0x0
	v_add_f64_e32 v[26:27], v[30:31], v[34:35]
	v_add_f64_e32 v[22:23], v[22:23], v[17:18]
	;; [unrolled: 1-line block ×3, first 2 shown]
	s_delay_alu instid0(VALU_DEP_3) | instskip(SKIP_1) | instid1(VALU_DEP_4)
	v_mul_f64_e32 v[129:130], s[36:37], v[26:27]
	v_mul_f64_e32 v[145:146], s[30:31], v[26:27]
	v_add_f64_e32 v[22:23], v[22:23], v[36:37]
	s_delay_alu instid0(VALU_DEP_4) | instskip(NEXT) | instid1(VALU_DEP_2)
	v_add_f64_e32 v[24:25], v[24:25], v[38:39]
	v_add_f64_e32 v[40:41], v[22:23], v[28:29]
	s_delay_alu instid0(VALU_DEP_2)
	v_add_f64_e32 v[42:43], v[24:25], v[30:31]
	v_add_f64_e32 v[22:23], v[28:29], v[32:33]
	v_add_f64_e64 v[24:25], v[28:29], -v[32:33]
	v_add_f64_e64 v[28:29], v[30:31], -v[34:35]
	v_add_f64_e32 v[44:45], v[40:41], v[32:33]
	v_add_f64_e32 v[53:54], v[42:43], v[34:35]
	ds_load_b128 v[40:43], v82 offset:1664
	ds_load_b128 v[49:52], v82 offset:1872
	v_mul_f64_e32 v[127:128], s[48:49], v[28:29]
	v_mul_f64_e32 v[143:144], s[20:21], v[28:29]
	s_wait_dscnt 0x1
	v_add_f64_e32 v[30:31], v[36:37], v[40:41]
	v_add_f64_e32 v[34:35], v[38:39], v[42:43]
	v_add_f64_e64 v[32:33], v[36:37], -v[40:41]
	v_add_f64_e64 v[36:37], v[38:39], -v[42:43]
	s_wait_dscnt 0x0
	v_add_f64_e32 v[38:39], v[17:18], v[49:50]
	v_add_f64_e64 v[17:18], v[17:18], -v[49:50]
	v_add_f64_e32 v[44:45], v[44:45], v[40:41]
	v_add_f64_e32 v[42:43], v[53:54], v[42:43]
	;; [unrolled: 1-line block ×3, first 2 shown]
	v_add_f64_e64 v[19:20], v[19:20], -v[51:52]
	v_mul_f64_e32 v[125:126], s[26:27], v[34:35]
	v_mul_f64_e32 v[141:142], s[38:39], v[34:35]
	;; [unrolled: 1-line block ×4, first 2 shown]
	v_add_f64_e32 v[53:54], v[44:45], v[49:50]
	v_add_f64_e32 v[55:56], v[42:43], v[51:52]
	ds_load_b128 v[49:52], v82 offset:2080
	v_mul_f64_e32 v[121:122], s[34:35], v[40:41]
	v_mul_f64_e32 v[135:136], s[50:51], v[19:20]
	;; [unrolled: 1-line block ×3, first 2 shown]
	s_wait_dscnt 0x0
	v_add_f64_e64 v[44:45], v[15:16], -v[51:52]
	v_add_f64_e32 v[42:43], v[15:16], v[51:52]
	v_add_f64_e32 v[15:16], v[13:14], v[49:50]
	v_add_f64_e64 v[13:14], v[13:14], -v[49:50]
	v_add_f64_e32 v[53:54], v[53:54], v[49:50]
	v_add_f64_e32 v[55:56], v[55:56], v[51:52]
	ds_load_b128 v[49:52], v82 offset:2288
	s_wait_dscnt 0x0
	v_add_f64_e64 v[83:84], v[11:12], -v[51:52]
	v_add_f64_e32 v[85:86], v[11:12], v[51:52]
	v_add_f64_e32 v[87:88], v[9:10], v[49:50]
	v_add_f64_e64 v[89:90], v[9:10], -v[49:50]
	ds_load_b128 v[9:12], v82 offset:2496
	v_mul_f64_e32 v[133:134], s[36:37], v[42:43]
	global_wb scope:SCOPE_SE
	s_wait_dscnt 0x0
	s_barrier_signal -1
	s_barrier_wait -1
	global_inv scope:SCOPE_SE
	v_add_f64_e32 v[49:50], v[53:54], v[49:50]
	v_add_f64_e32 v[51:52], v[55:56], v[51:52]
	v_add_f64_e64 v[53:54], v[7:8], -v[11:12]
	v_add_f64_e32 v[55:56], v[7:8], v[11:12]
	v_add_f64_e32 v[57:58], v[5:6], v[9:10]
	v_add_f64_e64 v[59:60], v[5:6], -v[9:10]
	v_mul_f64_e32 v[131:132], s[34:35], v[85:86]
	v_add_f64_e32 v[5:6], v[49:50], v[9:10]
	v_add_f64_e32 v[7:8], v[51:52], v[11:12]
	v_mul_f64_e32 v[9:10], s[52:53], v[53:54]
	v_mul_f64_e32 v[11:12], s[24:25], v[53:54]
	;; [unrolled: 1-line block ×4, first 2 shown]
	s_wait_alu 0xfffe
	v_mul_f64_e32 v[61:62], s[14:15], v[53:54]
	v_mul_f64_e32 v[53:54], s[12:13], v[53:54]
	;; [unrolled: 1-line block ×6, first 2 shown]
	v_fma_f64 v[63:64], v[57:58], s[38:39], v[9:10]
	v_fma_f64 v[9:10], v[57:58], s[38:39], -v[9:10]
	v_fma_f64 v[65:66], v[57:58], s[36:37], v[11:12]
	v_fma_f64 v[11:12], v[57:58], s[36:37], -v[11:12]
	;; [unrolled: 2-line block ×6, first 2 shown]
	v_mul_f64_e32 v[57:58], s[38:39], v[55:56]
	v_mul_f64_e32 v[55:56], s[26:27], v[55:56]
	v_fma_f64 v[95:96], v[59:60], s[48:49], v[75:76]
	v_fma_f64 v[75:76], v[59:60], s[24:25], v[75:76]
	;; [unrolled: 1-line block ×8, first 2 shown]
	v_add_f64_e32 v[105:106], v[1:2], v[63:64]
	v_add_f64_e32 v[107:108], v[1:2], v[9:10]
	;; [unrolled: 1-line block ×6, first 2 shown]
	v_mul_f64_e32 v[49:50], s[20:21], v[83:84]
	v_add_f64_e32 v[69:70], v[1:2], v[69:70]
	v_add_f64_e32 v[71:72], v[1:2], v[71:72]
	;; [unrolled: 1-line block ×3, first 2 shown]
	v_fma_f64 v[93:94], v[59:60], s[40:41], v[57:58]
	v_fma_f64 v[57:58], v[59:60], s[52:53], v[57:58]
	;; [unrolled: 1-line block ×4, first 2 shown]
	v_add_f64_e32 v[59:60], v[3:4], v[75:76]
	v_add_f64_e32 v[65:66], v[3:4], v[97:98]
	;; [unrolled: 1-line block ×14, first 2 shown]
	v_fma_f64 v[1:2], v[87:88], s[30:31], v[49:50]
	v_mul_f64_e32 v[51:52], s[12:13], v[44:45]
	v_add_f64_e32 v[111:112], v[3:4], v[55:56]
	v_fma_f64 v[49:50], v[87:88], s[30:31], -v[49:50]
	s_delay_alu instid0(VALU_DEP_4) | instskip(SKIP_2) | instid1(VALU_DEP_4)
	v_add_f64_e32 v[1:2], v[1:2], v[9:10]
	v_mul_f64_e32 v[9:10], s[30:31], v[85:86]
	v_fma_f64 v[53:54], v[15:16], s[26:27], v[51:52]
	v_add_f64_e32 v[11:12], v[49:50], v[11:12]
	v_fma_f64 v[49:50], v[15:16], s[26:27], -v[51:52]
	s_delay_alu instid0(VALU_DEP_4) | instskip(NEXT) | instid1(VALU_DEP_4)
	v_fma_f64 v[3:4], v[89:90], s[46:47], v[9:10]
	v_add_f64_e32 v[1:2], v[53:54], v[1:2]
	v_mul_f64_e32 v[53:54], s[26:27], v[42:43]
	v_fma_f64 v[9:10], v[89:90], s[20:21], v[9:10]
	v_add_f64_e32 v[11:12], v[49:50], v[11:12]
	v_add_f64_e32 v[3:4], v[3:4], v[57:58]
	s_delay_alu instid0(VALU_DEP_4) | instskip(NEXT) | instid1(VALU_DEP_4)
	v_fma_f64 v[55:56], v[13:14], s[50:51], v[53:54]
	v_add_f64_e32 v[9:10], v[9:10], v[59:60]
	v_fma_f64 v[49:50], v[13:14], s[12:13], v[53:54]
	v_mul_f64_e32 v[53:54], s[12:13], v[83:84]
	s_delay_alu instid0(VALU_DEP_4) | instskip(SKIP_1) | instid1(VALU_DEP_4)
	v_add_f64_e32 v[3:4], v[55:56], v[3:4]
	v_mul_f64_e32 v[55:56], s[44:45], v[19:20]
	v_add_f64_e32 v[9:10], v[49:50], v[9:10]
	s_delay_alu instid0(VALU_DEP_2) | instskip(SKIP_2) | instid1(VALU_DEP_3)
	v_fma_f64 v[57:58], v[38:39], s[28:29], v[55:56]
	v_fma_f64 v[49:50], v[38:39], s[28:29], -v[55:56]
	v_mul_f64_e32 v[55:56], s[26:27], v[85:86]
	v_add_f64_e32 v[1:2], v[57:58], v[1:2]
	v_mul_f64_e32 v[57:58], s[28:29], v[40:41]
	s_delay_alu instid0(VALU_DEP_4) | instskip(NEXT) | instid1(VALU_DEP_2)
	v_add_f64_e32 v[11:12], v[49:50], v[11:12]
	v_fma_f64 v[61:62], v[17:18], s[14:15], v[57:58]
	v_fma_f64 v[49:50], v[17:18], s[44:45], v[57:58]
	v_mul_f64_e32 v[57:58], s[46:47], v[44:45]
	s_delay_alu instid0(VALU_DEP_3) | instskip(SKIP_1) | instid1(VALU_DEP_4)
	v_add_f64_e32 v[3:4], v[61:62], v[3:4]
	v_mul_f64_e32 v[61:62], s[42:43], v[36:37]
	v_add_f64_e32 v[9:10], v[49:50], v[9:10]
	s_delay_alu instid0(VALU_DEP_4) | instskip(SKIP_1) | instid1(VALU_DEP_4)
	v_fma_f64 v[59:60], v[15:16], s[30:31], v[57:58]
	v_fma_f64 v[57:58], v[15:16], s[30:31], -v[57:58]
	v_fma_f64 v[113:114], v[30:31], s[34:35], v[61:62]
	v_fma_f64 v[49:50], v[30:31], s[34:35], -v[61:62]
	s_delay_alu instid0(VALU_DEP_2) | instskip(SKIP_1) | instid1(VALU_DEP_3)
	v_add_f64_e32 v[1:2], v[113:114], v[1:2]
	v_mul_f64_e32 v[113:114], s[34:35], v[34:35]
	v_add_f64_e32 v[11:12], v[49:50], v[11:12]
	s_delay_alu instid0(VALU_DEP_2) | instskip(SKIP_1) | instid1(VALU_DEP_2)
	v_fma_f64 v[115:116], v[32:33], s[22:23], v[113:114]
	v_fma_f64 v[49:50], v[32:33], s[42:43], v[113:114]
	v_add_f64_e32 v[3:4], v[115:116], v[3:4]
	v_mul_f64_e32 v[115:116], s[40:41], v[28:29]
	s_delay_alu instid0(VALU_DEP_3) | instskip(NEXT) | instid1(VALU_DEP_2)
	v_add_f64_e32 v[49:50], v[49:50], v[9:10]
	v_fma_f64 v[117:118], v[22:23], s[38:39], v[115:116]
	v_fma_f64 v[9:10], v[22:23], s[38:39], -v[115:116]
	s_delay_alu instid0(VALU_DEP_2) | instskip(SKIP_1) | instid1(VALU_DEP_3)
	v_add_f64_e32 v[1:2], v[117:118], v[1:2]
	v_mul_f64_e32 v[117:118], s[38:39], v[26:27]
	v_add_f64_e32 v[9:10], v[9:10], v[11:12]
	s_delay_alu instid0(VALU_DEP_2) | instskip(SKIP_1) | instid1(VALU_DEP_2)
	v_fma_f64 v[51:52], v[24:25], s[40:41], v[117:118]
	v_fma_f64 v[119:120], v[24:25], s[52:53], v[117:118]
	v_add_f64_e32 v[11:12], v[51:52], v[49:50]
	v_fma_f64 v[49:50], v[87:88], s[26:27], v[53:54]
	v_fma_f64 v[51:52], v[89:90], s[50:51], v[55:56]
	v_fma_f64 v[53:54], v[87:88], s[26:27], -v[53:54]
	v_fma_f64 v[55:56], v[89:90], s[12:13], v[55:56]
	v_add_f64_e32 v[3:4], v[119:120], v[3:4]
	v_add_f64_e32 v[49:50], v[49:50], v[63:64]
	;; [unrolled: 1-line block ×5, first 2 shown]
	v_mul_f64_e32 v[75:76], s[42:43], v[83:84]
	v_add_f64_e32 v[49:50], v[59:60], v[49:50]
	v_mul_f64_e32 v[59:60], s[30:31], v[42:43]
	v_add_f64_e32 v[53:54], v[57:58], v[53:54]
	s_delay_alu instid0(VALU_DEP_2) | instskip(SKIP_1) | instid1(VALU_DEP_2)
	v_fma_f64 v[61:62], v[13:14], s[20:21], v[59:60]
	v_fma_f64 v[57:58], v[13:14], s[46:47], v[59:60]
	v_add_f64_e32 v[51:52], v[61:62], v[51:52]
	v_mul_f64_e32 v[61:62], s[40:41], v[19:20]
	s_delay_alu instid0(VALU_DEP_3) | instskip(NEXT) | instid1(VALU_DEP_2)
	v_add_f64_e32 v[55:56], v[57:58], v[55:56]
	v_fma_f64 v[63:64], v[38:39], s[38:39], v[61:62]
	v_fma_f64 v[57:58], v[38:39], s[38:39], -v[61:62]
	s_delay_alu instid0(VALU_DEP_2) | instskip(SKIP_1) | instid1(VALU_DEP_3)
	v_add_f64_e32 v[49:50], v[63:64], v[49:50]
	v_mul_f64_e32 v[63:64], s[38:39], v[40:41]
	v_add_f64_e32 v[53:54], v[57:58], v[53:54]
	s_delay_alu instid0(VALU_DEP_2) | instskip(SKIP_2) | instid1(VALU_DEP_3)
	v_fma_f64 v[65:66], v[17:18], s[52:53], v[63:64]
	v_fma_f64 v[57:58], v[17:18], s[40:41], v[63:64]
	;; [unrolled: 1-line block ×3, first 2 shown]
	v_add_f64_e32 v[51:52], v[65:66], v[51:52]
	v_mul_f64_e32 v[65:66], s[24:25], v[36:37]
	s_delay_alu instid0(VALU_DEP_4) | instskip(NEXT) | instid1(VALU_DEP_4)
	v_add_f64_e32 v[55:56], v[57:58], v[55:56]
	v_add_f64_e32 v[63:64], v[63:64], v[97:98]
	v_mul_f64_e32 v[97:98], s[24:25], v[44:45]
	s_delay_alu instid0(VALU_DEP_4) | instskip(SKIP_1) | instid1(VALU_DEP_3)
	v_fma_f64 v[113:114], v[30:31], s[36:37], v[65:66]
	v_fma_f64 v[57:58], v[30:31], s[36:37], -v[65:66]
	v_fma_f64 v[65:66], v[15:16], s[36:37], v[97:98]
	s_delay_alu instid0(VALU_DEP_3) | instskip(SKIP_1) | instid1(VALU_DEP_4)
	v_add_f64_e32 v[49:50], v[113:114], v[49:50]
	v_mul_f64_e32 v[113:114], s[36:37], v[34:35]
	v_add_f64_e32 v[53:54], v[57:58], v[53:54]
	s_delay_alu instid0(VALU_DEP_2) | instskip(SKIP_2) | instid1(VALU_DEP_3)
	v_fma_f64 v[115:116], v[32:33], s[48:49], v[113:114]
	v_fma_f64 v[57:58], v[32:33], s[24:25], v[113:114]
	v_mul_f64_e32 v[113:114], s[44:45], v[83:84]
	v_add_f64_e32 v[51:52], v[115:116], v[51:52]
	v_mul_f64_e32 v[115:116], s[14:15], v[28:29]
	s_delay_alu instid0(VALU_DEP_4) | instskip(NEXT) | instid1(VALU_DEP_2)
	v_add_f64_e32 v[55:56], v[57:58], v[55:56]
	v_fma_f64 v[117:118], v[22:23], s[28:29], v[115:116]
	v_fma_f64 v[57:58], v[22:23], s[28:29], -v[115:116]
	v_mul_f64_e32 v[115:116], s[28:29], v[85:86]
	s_delay_alu instid0(VALU_DEP_3) | instskip(SKIP_1) | instid1(VALU_DEP_4)
	v_add_f64_e32 v[49:50], v[117:118], v[49:50]
	v_mul_f64_e32 v[117:118], s[28:29], v[26:27]
	v_add_f64_e32 v[53:54], v[57:58], v[53:54]
	v_fma_f64 v[57:58], v[87:88], s[28:29], v[113:114]
	s_delay_alu instid0(VALU_DEP_3) | instskip(SKIP_1) | instid1(VALU_DEP_3)
	v_fma_f64 v[59:60], v[24:25], s[14:15], v[117:118]
	v_fma_f64 v[119:120], v[24:25], s[44:45], v[117:118]
	v_add_f64_e32 v[57:58], v[57:58], v[69:70]
	v_mul_f64_e32 v[117:118], s[38:39], v[42:43]
	v_mul_f64_e32 v[69:70], s[40:41], v[83:84]
	;; [unrolled: 1-line block ×3, first 2 shown]
	v_add_f64_e32 v[55:56], v[59:60], v[55:56]
	v_fma_f64 v[59:60], v[89:90], s[14:15], v[115:116]
	v_add_f64_e32 v[51:52], v[119:120], v[51:52]
	v_mul_f64_e32 v[119:120], s[22:23], v[19:20]
	s_delay_alu instid0(VALU_DEP_3) | instskip(SKIP_1) | instid1(VALU_DEP_1)
	v_add_f64_e32 v[59:60], v[59:60], v[77:78]
	v_mul_f64_e32 v[77:78], s[40:41], v[44:45]
	v_fma_f64 v[61:62], v[15:16], s[38:39], v[77:78]
	v_fma_f64 v[77:78], v[15:16], s[38:39], -v[77:78]
	s_delay_alu instid0(VALU_DEP_2) | instskip(SKIP_1) | instid1(VALU_DEP_1)
	v_add_f64_e32 v[57:58], v[61:62], v[57:58]
	v_fma_f64 v[61:62], v[13:14], s[52:53], v[117:118]
	v_add_f64_e32 v[59:60], v[61:62], v[59:60]
	v_fma_f64 v[61:62], v[38:39], s[34:35], v[119:120]
	s_delay_alu instid0(VALU_DEP_1) | instskip(SKIP_1) | instid1(VALU_DEP_1)
	v_add_f64_e32 v[57:58], v[61:62], v[57:58]
	v_fma_f64 v[61:62], v[17:18], s[42:43], v[121:122]
	v_add_f64_e32 v[59:60], v[61:62], v[59:60]
	v_fma_f64 v[61:62], v[30:31], s[26:27], v[123:124]
	s_delay_alu instid0(VALU_DEP_1) | instskip(SKIP_1) | instid1(VALU_DEP_1)
	;; [unrolled: 5-line block ×3, first 2 shown]
	v_add_f64_e32 v[57:58], v[61:62], v[57:58]
	v_fma_f64 v[61:62], v[24:25], s[24:25], v[129:130]
	v_add_f64_e32 v[59:60], v[61:62], v[59:60]
	v_fma_f64 v[61:62], v[87:88], s[34:35], v[75:76]
	s_delay_alu instid0(VALU_DEP_1) | instskip(SKIP_2) | instid1(VALU_DEP_3)
	v_add_f64_e32 v[61:62], v[61:62], v[71:72]
	v_mul_f64_e32 v[71:72], s[38:39], v[85:86]
	v_mul_f64_e32 v[85:86], s[36:37], v[85:86]
	v_add_f64_e32 v[61:62], v[65:66], v[61:62]
	v_fma_f64 v[65:66], v[13:14], s[48:49], v[133:134]
	s_delay_alu instid0(VALU_DEP_4) | instskip(SKIP_1) | instid1(VALU_DEP_3)
	v_fma_f64 v[67:68], v[89:90], s[52:53], v[71:72]
	v_fma_f64 v[71:72], v[89:90], s[40:41], v[71:72]
	v_add_f64_e32 v[63:64], v[65:66], v[63:64]
	v_fma_f64 v[65:66], v[38:39], s[26:27], v[135:136]
	s_delay_alu instid0(VALU_DEP_4) | instskip(NEXT) | instid1(VALU_DEP_4)
	v_add_f64_e32 v[67:68], v[67:68], v[101:102]
	v_add_f64_e32 v[71:72], v[71:72], v[111:112]
	s_delay_alu instid0(VALU_DEP_3) | instskip(SKIP_1) | instid1(VALU_DEP_1)
	v_add_f64_e32 v[61:62], v[65:66], v[61:62]
	v_fma_f64 v[65:66], v[17:18], s[12:13], v[137:138]
	v_add_f64_e32 v[63:64], v[65:66], v[63:64]
	v_fma_f64 v[65:66], v[30:31], s[38:39], v[139:140]
	s_delay_alu instid0(VALU_DEP_1) | instskip(SKIP_1) | instid1(VALU_DEP_1)
	v_add_f64_e32 v[61:62], v[65:66], v[61:62]
	v_fma_f64 v[65:66], v[32:33], s[52:53], v[141:142]
	v_add_f64_e32 v[63:64], v[65:66], v[63:64]
	v_fma_f64 v[65:66], v[22:23], s[30:31], v[143:144]
	s_delay_alu instid0(VALU_DEP_1) | instskip(SKIP_1) | instid1(VALU_DEP_1)
	v_add_f64_e32 v[61:62], v[65:66], v[61:62]
	v_fma_f64 v[65:66], v[24:25], s[46:47], v[145:146]
	v_add_f64_e32 v[63:64], v[65:66], v[63:64]
	v_fma_f64 v[65:66], v[87:88], s[38:39], v[69:70]
	v_fma_f64 v[69:70], v[87:88], s[38:39], -v[69:70]
	s_delay_alu instid0(VALU_DEP_2) | instskip(SKIP_1) | instid1(VALU_DEP_3)
	v_add_f64_e32 v[65:66], v[65:66], v[73:74]
	v_mul_f64_e32 v[73:74], s[14:15], v[44:45]
	v_add_f64_e32 v[69:70], v[69:70], v[103:104]
	v_mul_f64_e32 v[44:45], s[22:23], v[44:45]
	s_delay_alu instid0(VALU_DEP_3) | instskip(SKIP_1) | instid1(VALU_DEP_2)
	v_fma_f64 v[101:102], v[15:16], s[28:29], v[73:74]
	v_fma_f64 v[73:74], v[15:16], s[28:29], -v[73:74]
	v_add_f64_e32 v[65:66], v[101:102], v[65:66]
	v_mul_f64_e32 v[101:102], s[28:29], v[42:43]
	s_delay_alu instid0(VALU_DEP_3) | instskip(SKIP_1) | instid1(VALU_DEP_3)
	v_add_f64_e32 v[69:70], v[73:74], v[69:70]
	v_mul_f64_e32 v[42:43], s[34:35], v[42:43]
	v_fma_f64 v[147:148], v[13:14], s[44:45], v[101:102]
	v_fma_f64 v[73:74], v[13:14], s[14:15], v[101:102]
	s_delay_alu instid0(VALU_DEP_2) | instskip(SKIP_1) | instid1(VALU_DEP_3)
	v_add_f64_e32 v[67:68], v[147:148], v[67:68]
	v_mul_f64_e32 v[147:148], s[48:49], v[19:20]
	v_add_f64_e32 v[71:72], v[73:74], v[71:72]
	v_mul_f64_e32 v[19:20], s[20:21], v[19:20]
	s_delay_alu instid0(VALU_DEP_3) | instskip(SKIP_1) | instid1(VALU_DEP_2)
	v_fma_f64 v[149:150], v[38:39], s[36:37], v[147:148]
	v_fma_f64 v[73:74], v[38:39], s[36:37], -v[147:148]
	v_add_f64_e32 v[65:66], v[149:150], v[65:66]
	v_mul_f64_e32 v[149:150], s[36:37], v[40:41]
	s_delay_alu instid0(VALU_DEP_3) | instskip(SKIP_1) | instid1(VALU_DEP_3)
	v_add_f64_e32 v[69:70], v[73:74], v[69:70]
	v_mul_f64_e32 v[40:41], s[30:31], v[40:41]
	v_fma_f64 v[151:152], v[17:18], s[24:25], v[149:150]
	v_fma_f64 v[73:74], v[17:18], s[48:49], v[149:150]
	;; [unrolled: 15-line block ×3, first 2 shown]
	s_delay_alu instid0(VALU_DEP_2) | instskip(SKIP_1) | instid1(VALU_DEP_3)
	v_add_f64_e32 v[67:68], v[155:156], v[67:68]
	v_mul_f64_e32 v[155:156], s[42:43], v[28:29]
	v_add_f64_e32 v[71:72], v[73:74], v[71:72]
	s_delay_alu instid0(VALU_DEP_2) | instskip(SKIP_1) | instid1(VALU_DEP_2)
	v_fma_f64 v[73:74], v[22:23], s[34:35], -v[155:156]
	v_fma_f64 v[157:158], v[22:23], s[34:35], v[155:156]
	v_add_f64_e32 v[69:70], v[73:74], v[69:70]
	v_fma_f64 v[73:74], v[87:88], s[34:35], -v[75:76]
	v_fma_f64 v[75:76], v[89:90], s[42:43], v[131:132]
	s_delay_alu instid0(VALU_DEP_4) | instskip(SKIP_1) | instid1(VALU_DEP_4)
	v_add_f64_e32 v[65:66], v[157:158], v[65:66]
	v_mul_f64_e32 v[157:158], s[34:35], v[26:27]
	v_add_f64_e32 v[73:74], v[73:74], v[99:100]
	s_delay_alu instid0(VALU_DEP_4)
	v_add_f64_e32 v[75:76], v[75:76], v[91:92]
	v_fma_f64 v[91:92], v[15:16], s[36:37], -v[97:98]
	v_fma_f64 v[97:98], v[24:25], s[20:21], v[145:146]
	v_mul_f64_e32 v[99:100], s[26:27], v[26:27]
	v_fma_f64 v[159:160], v[24:25], s[22:23], v[157:158]
	v_fma_f64 v[101:102], v[24:25], s[42:43], v[157:158]
	v_add_f64_e32 v[73:74], v[91:92], v[73:74]
	v_fma_f64 v[91:92], v[13:14], s[24:25], v[133:134]
	s_delay_alu instid0(VALU_DEP_4) | instskip(NEXT) | instid1(VALU_DEP_4)
	v_add_f64_e32 v[67:68], v[159:160], v[67:68]
	v_add_f64_e32 v[71:72], v[101:102], v[71:72]
	s_delay_alu instid0(VALU_DEP_3) | instskip(SKIP_1) | instid1(VALU_DEP_1)
	v_add_f64_e32 v[75:76], v[91:92], v[75:76]
	v_fma_f64 v[91:92], v[38:39], s[26:27], -v[135:136]
	v_add_f64_e32 v[73:74], v[91:92], v[73:74]
	v_fma_f64 v[91:92], v[17:18], s[50:51], v[137:138]
	s_delay_alu instid0(VALU_DEP_1) | instskip(SKIP_1) | instid1(VALU_DEP_1)
	v_add_f64_e32 v[75:76], v[91:92], v[75:76]
	v_fma_f64 v[91:92], v[30:31], s[38:39], -v[139:140]
	v_add_f64_e32 v[73:74], v[91:92], v[73:74]
	v_fma_f64 v[91:92], v[32:33], s[40:41], v[141:142]
	s_delay_alu instid0(VALU_DEP_1) | instskip(SKIP_1) | instid1(VALU_DEP_2)
	v_add_f64_e32 v[75:76], v[91:92], v[75:76]
	v_fma_f64 v[91:92], v[22:23], s[30:31], -v[143:144]
	v_add_f64_e32 v[75:76], v[97:98], v[75:76]
	s_delay_alu instid0(VALU_DEP_2) | instskip(SKIP_3) | instid1(VALU_DEP_3)
	v_add_f64_e32 v[73:74], v[91:92], v[73:74]
	v_fma_f64 v[91:92], v[87:88], s[28:29], -v[113:114]
	v_fma_f64 v[97:98], v[15:16], s[34:35], -v[44:45]
	v_fma_f64 v[15:16], v[15:16], s[34:35], v[44:45]
	v_add_f64_e32 v[91:92], v[91:92], v[95:96]
	v_fma_f64 v[95:96], v[89:90], s[44:45], v[115:116]
	s_delay_alu instid0(VALU_DEP_2) | instskip(NEXT) | instid1(VALU_DEP_2)
	v_add_f64_e32 v[77:78], v[77:78], v[91:92]
	v_add_f64_e32 v[79:80], v[95:96], v[79:80]
	v_fma_f64 v[91:92], v[13:14], s[40:41], v[117:118]
	v_fma_f64 v[95:96], v[24:25], s[48:49], v[129:130]
	s_delay_alu instid0(VALU_DEP_2) | instskip(SKIP_1) | instid1(VALU_DEP_1)
	v_add_f64_e32 v[79:80], v[91:92], v[79:80]
	v_fma_f64 v[91:92], v[38:39], s[34:35], -v[119:120]
	v_add_f64_e32 v[77:78], v[91:92], v[77:78]
	v_fma_f64 v[91:92], v[17:18], s[22:23], v[121:122]
	s_delay_alu instid0(VALU_DEP_1) | instskip(SKIP_1) | instid1(VALU_DEP_1)
	v_add_f64_e32 v[79:80], v[91:92], v[79:80]
	v_fma_f64 v[91:92], v[30:31], s[26:27], -v[123:124]
	v_add_f64_e32 v[77:78], v[91:92], v[77:78]
	v_fma_f64 v[91:92], v[32:33], s[50:51], v[125:126]
	s_delay_alu instid0(VALU_DEP_1) | instskip(SKIP_1) | instid1(VALU_DEP_2)
	v_add_f64_e32 v[79:80], v[91:92], v[79:80]
	v_fma_f64 v[91:92], v[22:23], s[36:37], -v[127:128]
	v_add_f64_e32 v[79:80], v[95:96], v[79:80]
	s_delay_alu instid0(VALU_DEP_2) | instskip(SKIP_4) | instid1(VALU_DEP_4)
	v_add_f64_e32 v[77:78], v[91:92], v[77:78]
	v_fma_f64 v[91:92], v[87:88], s[36:37], -v[83:84]
	v_fma_f64 v[95:96], v[89:90], s[24:25], v[85:86]
	v_fma_f64 v[83:84], v[87:88], s[36:37], v[83:84]
	;; [unrolled: 1-line block ×3, first 2 shown]
	v_add_f64_e32 v[91:92], v[91:92], v[107:108]
	s_delay_alu instid0(VALU_DEP_4) | instskip(NEXT) | instid1(VALU_DEP_3)
	v_add_f64_e32 v[95:96], v[95:96], v[109:110]
	v_add_f64_e32 v[44:45], v[85:86], v[93:94]
	s_delay_alu instid0(VALU_DEP_3) | instskip(SKIP_3) | instid1(VALU_DEP_3)
	v_add_f64_e32 v[91:92], v[97:98], v[91:92]
	v_fma_f64 v[97:98], v[13:14], s[22:23], v[42:43]
	v_fma_f64 v[13:14], v[13:14], s[42:43], v[42:43]
	v_add_f64_e32 v[42:43], v[83:84], v[105:106]
	v_add_f64_e32 v[95:96], v[97:98], v[95:96]
	v_fma_f64 v[97:98], v[38:39], s[30:31], -v[19:20]
	v_fma_f64 v[19:20], v[38:39], s[30:31], v[19:20]
	s_delay_alu instid0(VALU_DEP_4) | instskip(SKIP_1) | instid1(VALU_DEP_4)
	v_add_f64_e32 v[15:16], v[15:16], v[42:43]
	v_add_f64_e32 v[13:14], v[13:14], v[44:45]
	;; [unrolled: 1-line block ×3, first 2 shown]
	v_fma_f64 v[97:98], v[17:18], s[20:21], v[40:41]
	v_fma_f64 v[17:18], v[17:18], s[46:47], v[40:41]
	v_add_f64_e32 v[15:16], v[19:20], v[15:16]
	v_fma_f64 v[19:20], v[24:25], s[50:51], v[99:100]
	s_delay_alu instid0(VALU_DEP_4) | instskip(SKIP_3) | instid1(VALU_DEP_3)
	v_add_f64_e32 v[95:96], v[97:98], v[95:96]
	v_fma_f64 v[97:98], v[30:31], s[28:29], -v[36:37]
	v_fma_f64 v[30:31], v[30:31], s[28:29], v[36:37]
	v_add_f64_e32 v[13:14], v[17:18], v[13:14]
	v_add_f64_e32 v[91:92], v[97:98], v[91:92]
	v_fma_f64 v[97:98], v[32:33], s[14:15], v[34:35]
	v_fma_f64 v[32:33], v[32:33], s[44:45], v[34:35]
	v_add_f64_e32 v[15:16], v[30:31], v[15:16]
	s_delay_alu instid0(VALU_DEP_3) | instskip(SKIP_2) | instid1(VALU_DEP_2)
	v_add_f64_e32 v[95:96], v[97:98], v[95:96]
	v_mul_f64_e32 v[97:98], s[12:13], v[28:29]
	v_fma_f64 v[28:29], v[24:25], s[12:13], v[99:100]
	v_fma_f64 v[26:27], v[22:23], s[26:27], -v[97:98]
	v_fma_f64 v[17:18], v[22:23], s[26:27], v[97:98]
	v_add_f64_e32 v[22:23], v[32:33], v[13:14]
	s_delay_alu instid0(VALU_DEP_4) | instskip(NEXT) | instid1(VALU_DEP_4)
	v_add_f64_e32 v[28:29], v[28:29], v[95:96]
	v_add_f64_e32 v[26:27], v[26:27], v[91:92]
	s_delay_alu instid0(VALU_DEP_4) | instskip(NEXT) | instid1(VALU_DEP_4)
	v_add_f64_e32 v[13:14], v[17:18], v[15:16]
	v_add_f64_e32 v[15:16], v[19:20], v[22:23]
	v_mad_u32_u24 v17, 0xd0, v47, v48
	ds_store_b128 v17, v[1:4] offset:32
	ds_store_b128 v17, v[49:52] offset:48
	;; [unrolled: 1-line block ×4, first 2 shown]
	v_mul_u32_u24_e32 v1, 12, v47
	ds_store_b128 v17, v[65:68] offset:96
	ds_store_b128 v17, v[69:72] offset:112
	;; [unrolled: 1-line block ×8, first 2 shown]
	ds_store_b128 v17, v[5:8]
	v_lshlrev_b32_e32 v34, 4, v1
	global_wb scope:SCOPE_SE
	s_wait_dscnt 0x0
	s_barrier_signal -1
	s_barrier_wait -1
	global_inv scope:SCOPE_SE
	s_clause 0x4
	global_load_b128 v[1:4], v34, s[4:5]
	global_load_b128 v[9:12], v34, s[4:5] offset:176
	global_load_b128 v[5:8], v34, s[4:5] offset:16
	;; [unrolled: 1-line block ×4, first 2 shown]
	ds_load_b128 v[22:25], v82 offset:208
	ds_load_b128 v[58:61], v46
	ds_load_b128 v[26:29], v82 offset:2496
	ds_load_b128 v[35:38], v82 offset:2080
	global_load_b128 v[44:47], v34, s[4:5] offset:128
	s_wait_loadcnt_dscnt 0x503
	v_mul_f64_e32 v[30:31], v[22:23], v[3:4]
	v_mul_f64_e32 v[3:4], v[24:25], v[3:4]
	s_wait_loadcnt_dscnt 0x401
	v_mul_f64_e32 v[32:33], v[26:27], v[11:12]
	s_delay_alu instid0(VALU_DEP_3) | instskip(NEXT) | instid1(VALU_DEP_3)
	v_fma_f64 v[56:57], v[24:25], v[1:2], -v[30:31]
	v_fma_f64 v[62:63], v[22:23], v[1:2], v[3:4]
	v_mul_f64_e32 v[3:4], v[28:29], v[11:12]
	ds_load_b128 v[22:25], v82 offset:416
	v_fma_f64 v[1:2], v[28:29], v[9:10], -v[32:33]
	ds_load_b128 v[30:33], v82 offset:2288
	v_fma_f64 v[3:4], v[26:27], v[9:10], v[3:4]
	ds_load_b128 v[26:29], v82 offset:624
	s_wait_loadcnt_dscnt 0x302
	v_mul_f64_e32 v[9:10], v[22:23], v[7:8]
	v_mul_f64_e32 v[7:8], v[24:25], v[7:8]
	s_wait_loadcnt_dscnt 0x100
	v_mul_f64_e32 v[11:12], v[26:27], v[15:16]
	v_add_f64_e32 v[66:67], v[62:63], v[3:4]
	s_delay_alu instid0(VALU_DEP_4) | instskip(NEXT) | instid1(VALU_DEP_4)
	v_fma_f64 v[9:10], v[24:25], v[5:6], -v[9:10]
	v_fma_f64 v[22:23], v[22:23], v[5:6], v[7:8]
	v_mul_f64_e32 v[5:6], v[30:31], v[19:20]
	v_mul_f64_e32 v[7:8], v[32:33], v[19:20]
	s_delay_alu instid0(VALU_DEP_2) | instskip(NEXT) | instid1(VALU_DEP_2)
	v_fma_f64 v[5:6], v[32:33], v[17:18], -v[5:6]
	v_fma_f64 v[7:8], v[30:31], v[17:18], v[7:8]
	v_mul_f64_e32 v[17:18], v[28:29], v[15:16]
	global_load_b128 v[30:33], v34, s[4:5] offset:48
	v_fma_f64 v[15:16], v[28:29], v[13:14], -v[11:12]
	v_fma_f64 v[17:18], v[26:27], v[13:14], v[17:18]
	global_load_b128 v[24:27], v34, s[4:5] offset:144
	s_wait_loadcnt 0x0
	v_mul_f64_e32 v[11:12], v[35:36], v[26:27]
	v_mul_f64_e32 v[13:14], v[37:38], v[26:27]
	s_delay_alu instid0(VALU_DEP_2) | instskip(NEXT) | instid1(VALU_DEP_2)
	v_fma_f64 v[11:12], v[37:38], v[24:25], -v[11:12]
	v_fma_f64 v[13:14], v[35:36], v[24:25], v[13:14]
	ds_load_b128 v[24:27], v82 offset:832
	ds_load_b128 v[35:38], v82 offset:1040
	s_wait_dscnt 0x1
	v_mul_f64_e32 v[19:20], v[26:27], v[32:33]
	v_add_f64_e64 v[123:124], v[15:16], -v[11:12]
	v_add_f64_e32 v[125:126], v[15:16], v[11:12]
	v_add_f64_e64 v[127:128], v[17:18], -v[13:14]
	s_delay_alu instid0(VALU_DEP_4)
	v_fma_f64 v[19:20], v[24:25], v[30:31], v[19:20]
	v_mul_f64_e32 v[24:25], v[24:25], v[32:33]
	v_mul_f64_e32 v[171:172], s[12:13], v[123:124]
	;; [unrolled: 1-line block ×8, first 2 shown]
	v_fma_f64 v[24:25], v[26:27], v[30:31], -v[24:25]
	s_clause 0x1
	global_load_b128 v[28:31], v34, s[4:5] offset:64
	global_load_b128 v[39:42], v34, s[4:5] offset:80
	s_wait_loadcnt_dscnt 0x100
	v_mul_f64_e32 v[26:27], v[37:38], v[30:31]
	v_mul_f64_e32 v[30:31], v[35:36], v[30:31]
	s_delay_alu instid0(VALU_DEP_2) | instskip(NEXT) | instid1(VALU_DEP_2)
	v_fma_f64 v[26:27], v[35:36], v[28:29], v[26:27]
	v_fma_f64 v[28:29], v[37:38], v[28:29], -v[30:31]
	ds_load_b128 v[35:38], v82 offset:1248
	ds_load_b128 v[48:51], v82 offset:1456
	s_wait_loadcnt_dscnt 0x1
	v_mul_f64_e32 v[30:31], v[37:38], v[41:42]
	v_mul_f64_e32 v[32:33], v[35:36], v[41:42]
	s_delay_alu instid0(VALU_DEP_2) | instskip(NEXT) | instid1(VALU_DEP_2)
	v_fma_f64 v[30:31], v[35:36], v[39:40], v[30:31]
	v_fma_f64 v[32:33], v[37:38], v[39:40], -v[32:33]
	s_clause 0x1
	global_load_b128 v[36:39], v34, s[4:5] offset:96
	global_load_b128 v[40:43], v34, s[4:5] offset:112
	s_mov_b32 s5, s19
	s_mul_i32 s4, s33, s2
	s_delay_alu instid0(SALU_CYCLE_1) | instskip(SKIP_3) | instid1(VALU_DEP_2)
	s_lshl_b64 s[4:5], s[4:5], 4
	s_wait_loadcnt_dscnt 0x100
	v_mul_f64_e32 v[34:35], v[50:51], v[38:39]
	v_mul_f64_e32 v[38:39], v[48:49], v[38:39]
	v_fma_f64 v[34:35], v[48:49], v[36:37], v[34:35]
	s_delay_alu instid0(VALU_DEP_2)
	v_fma_f64 v[36:37], v[50:51], v[36:37], -v[38:39]
	ds_load_b128 v[48:51], v82 offset:1664
	ds_load_b128 v[52:55], v82 offset:1872
	global_wb scope:SCOPE_SE
	s_wait_loadcnt_dscnt 0x0
	s_barrier_signal -1
	s_barrier_wait -1
	global_inv scope:SCOPE_SE
	v_mul_f64_e32 v[38:39], v[50:51], v[42:43]
	v_mul_f64_e32 v[42:43], v[48:49], v[42:43]
	v_add_f64_e32 v[157:158], v[30:31], v[34:35]
	v_add_f64_e64 v[155:156], v[32:33], -v[36:37]
	v_add_f64_e32 v[161:162], v[32:33], v[36:37]
	v_add_f64_e64 v[163:164], v[30:31], -v[34:35]
	v_fma_f64 v[38:39], v[48:49], v[40:41], v[38:39]
	v_fma_f64 v[40:41], v[50:51], v[40:41], -v[42:43]
	v_mul_f64_e32 v[42:43], v[54:55], v[46:47]
	v_mul_f64_e32 v[46:47], v[52:53], v[46:47]
	;; [unrolled: 1-line block ×10, first 2 shown]
	v_add_f64_e32 v[145:146], v[26:27], v[38:39]
	v_add_f64_e64 v[143:144], v[28:29], -v[40:41]
	v_fma_f64 v[42:43], v[52:53], v[44:45], v[42:43]
	v_fma_f64 v[44:45], v[54:55], v[44:45], -v[46:47]
	v_add_f64_e64 v[46:47], v[56:57], -v[1:2]
	v_add_f64_e32 v[149:150], v[28:29], v[40:41]
	v_add_f64_e64 v[151:152], v[26:27], -v[38:39]
	v_mul_f64_e32 v[147:148], s[14:15], v[143:144]
	v_add_f64_e32 v[133:134], v[19:20], v[42:43]
	v_add_f64_e64 v[131:132], v[24:25], -v[44:45]
	v_mul_f64_e32 v[48:49], s[52:53], v[46:47]
	v_mul_f64_e32 v[50:51], s[24:25], v[46:47]
	v_mul_f64_e32 v[52:53], s[22:23], v[46:47]
	v_mul_f64_e32 v[54:55], s[20:21], v[46:47]
	v_mul_f64_e32 v[64:65], s[14:15], v[46:47]
	v_mul_f64_e32 v[46:47], s[12:13], v[46:47]
	v_add_f64_e32 v[137:138], v[24:25], v[44:45]
	v_add_f64_e64 v[139:140], v[19:20], -v[42:43]
	v_mul_f64_e32 v[153:154], s[28:29], v[149:150]
	v_mul_f64_e32 v[179:180], s[42:43], v[143:144]
	v_mul_f64_e32 v[181:182], s[34:35], v[149:150]
	v_mul_f64_e32 v[199:200], s[24:25], v[143:144]
	v_mul_f64_e32 v[201:202], s[36:37], v[149:150]
	v_mul_f64_e32 v[219:220], s[50:51], v[143:144]
	v_mul_f64_e32 v[221:222], s[26:27], v[149:150]
	v_mul_f64_e32 v[135:136], s[20:21], v[131:132]
	v_fma_f64 v[68:69], v[66:67], s[38:39], v[48:49]
	v_fma_f64 v[70:71], v[66:67], s[38:39], -v[48:49]
	v_fma_f64 v[72:73], v[66:67], s[36:37], v[50:51]
	v_fma_f64 v[74:75], v[66:67], s[36:37], -v[50:51]
	v_fma_f64 v[76:77], v[66:67], s[34:35], v[52:53]
	v_fma_f64 v[89:90], v[66:67], s[26:27], v[46:47]
	v_fma_f64 v[91:92], v[66:67], s[26:27], -v[46:47]
	v_add_f64_e32 v[46:47], v[56:57], v[1:2]
	v_fma_f64 v[78:79], v[66:67], s[34:35], -v[52:53]
	v_fma_f64 v[80:81], v[66:67], s[30:31], v[54:55]
	v_fma_f64 v[83:84], v[66:67], s[30:31], -v[54:55]
	v_fma_f64 v[85:86], v[66:67], s[28:29], v[64:65]
	v_fma_f64 v[87:88], v[66:67], s[28:29], -v[64:65]
	v_add_f64_e64 v[66:67], v[62:63], -v[3:4]
	v_mul_f64_e32 v[141:142], s[30:31], v[137:138]
	v_mul_f64_e32 v[175:176], s[44:45], v[131:132]
	;; [unrolled: 1-line block ×7, first 2 shown]
	v_add_f64_e32 v[117:118], v[58:59], v[68:69]
	v_add_f64_e32 v[121:122], v[58:59], v[89:90]
	v_mul_f64_e32 v[48:49], s[38:39], v[46:47]
	v_mul_f64_e32 v[50:51], s[36:37], v[46:47]
	;; [unrolled: 1-line block ×6, first 2 shown]
	v_add_f64_e32 v[68:69], v[58:59], v[83:84]
	v_add_f64_e32 v[119:120], v[58:59], v[87:88]
	v_fma_f64 v[93:94], v[66:67], s[40:41], v[48:49]
	v_fma_f64 v[95:96], v[66:67], s[52:53], v[48:49]
	;; [unrolled: 1-line block ×12, first 2 shown]
	v_add_f64_e32 v[50:51], v[58:59], v[70:71]
	v_add_f64_e32 v[46:47], v[58:59], v[62:63]
	;; [unrolled: 1-line block ×11, first 2 shown]
	v_add_f64_e64 v[115:116], v[9:10], -v[5:6]
	v_add_f64_e32 v[99:100], v[58:59], v[76:77]
	v_add_f64_e32 v[101:102], v[60:61], v[101:102]
	v_add_f64_e32 v[62:63], v[60:61], v[103:104]
	v_add_f64_e32 v[103:104], v[58:59], v[80:81]
	v_add_f64_e32 v[105:106], v[60:61], v[105:106]
	v_add_f64_e32 v[66:67], v[60:61], v[107:108]
	v_add_f64_e32 v[107:108], v[58:59], v[85:86]
	v_add_f64_e32 v[109:110], v[60:61], v[109:110]
	v_add_f64_e32 v[111:112], v[60:61], v[111:112]
	v_add_f64_e32 v[113:114], v[60:61], v[113:114]
	v_add_f64_e32 v[72:73], v[58:59], v[91:92]
	v_add_f64_e32 v[58:59], v[22:23], v[7:8]
	v_mul_f64_e32 v[80:81], s[22:23], v[123:124]
	v_mul_f64_e32 v[60:61], s[24:25], v[115:116]
	;; [unrolled: 1-line block ×5, first 2 shown]
	s_delay_alu instid0(VALU_DEP_4) | instskip(NEXT) | instid1(VALU_DEP_1)
	v_fma_f64 v[74:75], v[58:59], s[36:37], v[60:61]
	v_add_f64_e32 v[83:84], v[74:75], v[117:118]
	v_add_f64_e32 v[117:118], v[9:10], v[5:6]
	v_add_f64_e64 v[74:75], v[22:23], -v[7:8]
	v_add_f64_e32 v[22:23], v[46:47], v[22:23]
	v_add_f64_e32 v[9:10], v[48:49], v[9:10]
	s_delay_alu instid0(VALU_DEP_4)
	v_mul_f64_e32 v[76:77], s[36:37], v[117:118]
	v_mul_f64_e32 v[169:170], s[30:31], v[117:118]
	;; [unrolled: 1-line block ×4, first 2 shown]
	v_add_f64_e32 v[9:10], v[9:10], v[15:16]
	v_fma_f64 v[78:79], v[74:75], s[48:49], v[76:77]
	v_fma_f64 v[89:90], v[74:75], s[46:47], v[169:170]
	s_delay_alu instid0(VALU_DEP_3) | instskip(NEXT) | instid1(VALU_DEP_3)
	v_add_f64_e32 v[9:10], v[9:10], v[24:25]
	v_add_f64_e32 v[85:86], v[78:79], v[93:94]
	;; [unrolled: 1-line block ×3, first 2 shown]
	s_delay_alu instid0(VALU_DEP_4)
	v_add_f64_e32 v[89:90], v[89:90], v[97:98]
	v_fma_f64 v[93:94], v[74:75], s[50:51], v[189:190]
	v_fma_f64 v[97:98], v[74:75], s[14:15], v[209:210]
	v_add_f64_e32 v[17:18], v[22:23], v[17:18]
	v_add_f64_e32 v[9:10], v[9:10], v[28:29]
	v_fma_f64 v[87:88], v[78:79], s[34:35], v[80:81]
	v_fma_f64 v[91:92], v[78:79], s[26:27], v[171:172]
	v_add_f64_e32 v[93:94], v[93:94], v[101:102]
	v_add_f64_e32 v[97:98], v[97:98], v[105:106]
	v_mul_f64_e32 v[105:106], s[34:35], v[117:118]
	v_add_f64_e32 v[15:16], v[17:18], v[19:20]
	v_add_f64_e32 v[9:10], v[9:10], v[32:33]
	;; [unrolled: 1-line block ×3, first 2 shown]
	v_fma_f64 v[87:88], v[127:128], s[42:43], v[129:130]
	v_fma_f64 v[101:102], v[74:75], s[22:23], v[105:106]
	;; [unrolled: 1-line block ×3, first 2 shown]
	v_add_f64_e32 v[15:16], v[15:16], v[26:27]
	v_add_f64_e32 v[9:10], v[9:10], v[36:37]
	;; [unrolled: 1-line block ×3, first 2 shown]
	v_fma_f64 v[87:88], v[133:134], s[30:31], v[135:136]
	v_add_f64_e32 v[101:102], v[101:102], v[109:110]
	v_add_f64_e32 v[105:106], v[105:106], v[111:112]
	v_mul_f64_e32 v[111:112], s[40:41], v[115:116]
	v_add_f64_e32 v[15:16], v[15:16], v[30:31]
	v_add_f64_e32 v[9:10], v[9:10], v[40:41]
	;; [unrolled: 1-line block ×3, first 2 shown]
	v_fma_f64 v[87:88], v[139:140], s[46:47], v[141:142]
	s_delay_alu instid0(VALU_DEP_4) | instskip(NEXT) | instid1(VALU_DEP_4)
	v_add_f64_e32 v[15:16], v[15:16], v[34:35]
	v_add_f64_e32 v[9:10], v[9:10], v[44:45]
	s_delay_alu instid0(VALU_DEP_3) | instskip(SKIP_1) | instid1(VALU_DEP_4)
	v_add_f64_e32 v[85:86], v[87:88], v[85:86]
	v_fma_f64 v[87:88], v[145:146], s[28:29], v[147:148]
	v_add_f64_e32 v[15:16], v[15:16], v[38:39]
	s_delay_alu instid0(VALU_DEP_4) | instskip(SKIP_1) | instid1(VALU_DEP_1)
	v_add_f64_e32 v[9:10], v[9:10], v[11:12]
	v_mul_u32_u24_e32 v11, 0x1556, v0
	v_lshrrev_b32_e32 v17, 16, v11
	s_delay_alu instid0(VALU_DEP_1) | instskip(SKIP_2) | instid1(VALU_DEP_2)
	v_mul_lo_u16 v11, v17, 12
	v_mul_lo_u32 v20, s3, v17
	s_mul_i32 s3, s3, 13
	v_sub_nc_u16 v18, v0, v11
	v_add_f64_e32 v[83:84], v[87:88], v[83:84]
	v_fma_f64 v[87:88], v[151:152], s[44:45], v[153:154]
	v_add_f64_e32 v[15:16], v[15:16], v[42:43]
	s_delay_alu instid0(VALU_DEP_2) | instskip(SKIP_1) | instid1(VALU_DEP_3)
	v_add_f64_e32 v[85:86], v[87:88], v[85:86]
	v_fma_f64 v[87:88], v[157:158], s[26:27], v[159:160]
	v_add_f64_e32 v[13:14], v[15:16], v[13:14]
	v_and_b32_e32 v15, 0xffff, v18
	s_delay_alu instid0(VALU_DEP_1) | instskip(NEXT) | instid1(VALU_DEP_4)
	v_mad_co_u64_u32 v[11:12], null, s0, v15, 0
	v_add_f64_e32 v[83:84], v[87:88], v[83:84]
	v_fma_f64 v[87:88], v[163:164], s[50:51], v[165:166]
	s_delay_alu instid0(VALU_DEP_3)
	v_mad_co_u64_u32 v[15:16], null, s1, v15, v[12:13]
	v_add_f64_e32 v[13:14], v[13:14], v[7:8]
	s_mul_u64 s[0:1], s[0:1], s[6:7]
	s_wait_alu 0xfffe
	s_lshl_b64 s[0:1], s[0:1], 4
	s_wait_alu 0xfffe
	s_add_nc_u64 s[0:1], s[10:11], s[0:1]
	s_delay_alu instid0(VALU_DEP_2)
	v_mov_b32_e32 v12, v15
	v_add_f64_e32 v[15:16], v[9:10], v[5:6]
	v_mul_lo_u16 v5, 0xaa, v18
	v_lshlrev_b32_e32 v6, 4, v17
	s_wait_alu 0xfffe
	s_add_nc_u64 s[0:1], s[0:1], s[4:5]
	s_mul_u64 s[4:5], s[8:9], s[16:17]
	v_lshlrev_b64_e32 v[17:18], 4, v[20:21]
	v_and_b32_e32 v5, 0xffff, v5
	v_add_nc_u32_e32 v20, s3, v20
	s_lshl_b64 s[4:5], s[4:5], 4
	s_wait_alu 0xfffe
	s_add_nc_u64 s[0:1], s[0:1], s[4:5]
	v_lshlrev_b32_e32 v5, 4, v5
	v_lshlrev_b64_e32 v[22:23], 4, v[20:21]
	v_add_nc_u32_e32 v20, s3, v20
	s_delay_alu instid0(VALU_DEP_3) | instskip(SKIP_3) | instid1(VALU_DEP_1)
	v_add3_u32 v19, 0, v5, v6
	v_add3_u32 v5, 0, v6, v5
	v_lshlrev_b64_e32 v[6:7], 4, v[11:12]
	s_wait_alu 0xfffe
	v_add_co_u32 v6, vcc_lo, s0, v6
	s_wait_alu 0xfffd
	s_delay_alu instid0(VALU_DEP_2)
	v_add_co_ci_u32_e32 v7, vcc_lo, s1, v7, vcc_lo
	v_add_f64_e32 v[85:86], v[87:88], v[85:86]
	v_fma_f64 v[87:88], v[58:59], s[30:31], v[167:168]
	v_add_f64_e32 v[8:9], v[13:14], v[3:4]
	v_add_f64_e32 v[10:11], v[15:16], v[1:2]
	v_lshlrev_b64_e32 v[1:2], 4, v[20:21]
	v_add_co_u32 v16, vcc_lo, v6, v17
	s_wait_alu 0xfffd
	v_add_co_ci_u32_e32 v17, vcc_lo, v7, v18, vcc_lo
	v_add_nc_u32_e32 v20, s3, v20
	v_add_co_u32 v22, vcc_lo, v6, v22
	s_wait_alu 0xfffd
	v_add_co_ci_u32_e32 v23, vcc_lo, v7, v23, vcc_lo
	v_add_co_u32 v26, vcc_lo, v6, v1
	s_wait_alu 0xfffd
	v_add_co_ci_u32_e32 v27, vcc_lo, v7, v2, vcc_lo
	v_lshlrev_b64_e32 v[1:2], 4, v[20:21]
	v_add_nc_u32_e32 v20, s3, v20
	s_delay_alu instid0(VALU_DEP_1) | instskip(NEXT) | instid1(VALU_DEP_3)
	v_lshlrev_b64_e32 v[3:4], 4, v[20:21]
	v_add_co_u32 v28, vcc_lo, v6, v1
	v_add_nc_u32_e32 v20, s3, v20
	s_wait_alu 0xfffd
	v_add_co_ci_u32_e32 v29, vcc_lo, v7, v2, vcc_lo
	s_delay_alu instid0(VALU_DEP_4)
	v_add_co_u32 v30, vcc_lo, v6, v3
	v_add_f64_e32 v[87:88], v[87:88], v[95:96]
	v_fma_f64 v[95:96], v[78:79], s[30:31], v[191:192]
	s_wait_alu 0xfffd
	v_add_co_ci_u32_e32 v31, vcc_lo, v7, v4, vcc_lo
	v_lshlrev_b64_e32 v[12:13], 4, v[20:21]
	v_add_nc_u32_e32 v20, s3, v20
	s_delay_alu instid0(VALU_DEP_1) | instskip(SKIP_1) | instid1(VALU_DEP_4)
	v_lshlrev_b64_e32 v[14:15], 4, v[20:21]
	v_add_nc_u32_e32 v20, s3, v20
	v_add_co_u32 v32, vcc_lo, v6, v12
	s_wait_alu 0xfffd
	v_add_co_ci_u32_e32 v33, vcc_lo, v7, v13, vcc_lo
	s_delay_alu instid0(VALU_DEP_3) | instskip(SKIP_4) | instid1(VALU_DEP_4)
	v_lshlrev_b64_e32 v[12:13], 4, v[20:21]
	v_add_co_u32 v34, vcc_lo, v6, v14
	s_wait_alu 0xfffd
	v_add_co_ci_u32_e32 v35, vcc_lo, v7, v15, vcc_lo
	v_add_nc_u32_e32 v20, s3, v20
	v_add_co_u32 v38, vcc_lo, v6, v12
	s_wait_alu 0xfffd
	v_add_co_ci_u32_e32 v39, vcc_lo, v7, v13, vcc_lo
	s_delay_alu instid0(VALU_DEP_3) | instskip(SKIP_1) | instid1(VALU_DEP_1)
	v_lshlrev_b64_e32 v[36:37], 4, v[20:21]
	v_add_nc_u32_e32 v20, s3, v20
	v_lshlrev_b64_e32 v[40:41], 4, v[20:21]
	s_delay_alu instid0(VALU_DEP_3) | instskip(SKIP_1) | instid1(VALU_DEP_4)
	v_add_co_u32 v36, vcc_lo, v6, v36
	s_wait_alu 0xfffd
	v_add_co_ci_u32_e32 v37, vcc_lo, v7, v37, vcc_lo
	v_add_nc_u32_e32 v20, s3, v20
	v_add_f64_e32 v[87:88], v[91:92], v[87:88]
	v_fma_f64 v[91:92], v[127:128], s[50:51], v[173:174]
	v_add_co_u32 v40, vcc_lo, v6, v40
	s_wait_alu 0xfffd
	v_add_co_ci_u32_e32 v41, vcc_lo, v7, v41, vcc_lo
	v_cmp_gt_u32_e32 vcc_lo, 12, v0
	v_lshlrev_b64_e32 v[42:43], 4, v[20:21]
	v_add_nc_u32_e32 v20, s3, v20
	s_delay_alu instid0(VALU_DEP_1) | instskip(SKIP_3) | instid1(VALU_DEP_1)
	v_lshlrev_b64_e32 v[44:45], 4, v[20:21]
	v_add_nc_u32_e32 v20, s3, v20
	v_add_f64_e32 v[89:90], v[91:92], v[89:90]
	v_fma_f64 v[91:92], v[133:134], s[28:29], v[175:176]
	v_add_f64_e32 v[87:88], v[91:92], v[87:88]
	v_fma_f64 v[91:92], v[139:140], s[14:15], v[177:178]
	s_delay_alu instid0(VALU_DEP_1) | instskip(SKIP_1) | instid1(VALU_DEP_1)
	v_add_f64_e32 v[89:90], v[91:92], v[89:90]
	v_fma_f64 v[91:92], v[145:146], s[34:35], v[179:180]
	v_add_f64_e32 v[87:88], v[91:92], v[87:88]
	v_fma_f64 v[91:92], v[151:152], s[22:23], v[181:182]
	s_delay_alu instid0(VALU_DEP_1) | instskip(SKIP_1) | instid1(VALU_DEP_1)
	;; [unrolled: 5-line block ×3, first 2 shown]
	v_add_f64_e32 v[89:90], v[91:92], v[89:90]
	v_fma_f64 v[91:92], v[58:59], s[26:27], v[187:188]
	v_add_f64_e32 v[91:92], v[91:92], v[99:100]
	v_fma_f64 v[99:100], v[78:79], s[38:39], v[211:212]
	s_delay_alu instid0(VALU_DEP_2) | instskip(SKIP_1) | instid1(VALU_DEP_1)
	v_add_f64_e32 v[91:92], v[95:96], v[91:92]
	v_fma_f64 v[95:96], v[127:128], s[20:21], v[193:194]
	v_add_f64_e32 v[93:94], v[95:96], v[93:94]
	v_fma_f64 v[95:96], v[133:134], s[38:39], v[195:196]
	s_delay_alu instid0(VALU_DEP_1) | instskip(SKIP_1) | instid1(VALU_DEP_1)
	v_add_f64_e32 v[91:92], v[95:96], v[91:92]
	v_fma_f64 v[95:96], v[139:140], s[52:53], v[197:198]
	v_add_f64_e32 v[93:94], v[95:96], v[93:94]
	v_fma_f64 v[95:96], v[145:146], s[36:37], v[199:200]
	s_delay_alu instid0(VALU_DEP_1) | instskip(SKIP_1) | instid1(VALU_DEP_1)
	;; [unrolled: 5-line block ×3, first 2 shown]
	v_add_f64_e32 v[91:92], v[95:96], v[91:92]
	v_fma_f64 v[95:96], v[163:164], s[44:45], v[205:206]
	v_add_f64_e32 v[93:94], v[95:96], v[93:94]
	v_fma_f64 v[95:96], v[58:59], s[28:29], v[207:208]
	s_delay_alu instid0(VALU_DEP_1) | instskip(SKIP_2) | instid1(VALU_DEP_3)
	v_add_f64_e32 v[95:96], v[95:96], v[103:104]
	v_mul_f64_e32 v[103:104], s[42:43], v[115:116]
	v_mul_f64_e32 v[115:116], s[38:39], v[117:118]
	v_add_f64_e32 v[95:96], v[99:100], v[95:96]
	v_fma_f64 v[99:100], v[127:128], s[52:53], v[213:214]
	s_delay_alu instid0(VALU_DEP_1) | instskip(SKIP_1) | instid1(VALU_DEP_1)
	v_add_f64_e32 v[97:98], v[99:100], v[97:98]
	v_fma_f64 v[99:100], v[133:134], s[34:35], v[215:216]
	v_add_f64_e32 v[95:96], v[99:100], v[95:96]
	v_fma_f64 v[99:100], v[139:140], s[42:43], v[217:218]
	s_delay_alu instid0(VALU_DEP_1) | instskip(SKIP_1) | instid1(VALU_DEP_1)
	v_add_f64_e32 v[97:98], v[99:100], v[97:98]
	v_fma_f64 v[99:100], v[145:146], s[26:27], v[219:220]
	;; [unrolled: 5-line block ×3, first 2 shown]
	v_add_f64_e32 v[95:96], v[99:100], v[95:96]
	v_fma_f64 v[99:100], v[163:164], s[24:25], v[225:226]
	s_delay_alu instid0(VALU_DEP_1) | instskip(SKIP_2) | instid1(VALU_DEP_2)
	v_add_f64_e32 v[97:98], v[99:100], v[97:98]
	v_fma_f64 v[99:100], v[58:59], s[34:35], v[103:104]
	v_fma_f64 v[103:104], v[58:59], s[34:35], -v[103:104]
	v_add_f64_e32 v[99:100], v[99:100], v[107:108]
	v_mul_f64_e32 v[107:108], s[24:25], v[123:124]
	s_delay_alu instid0(VALU_DEP_3) | instskip(NEXT) | instid1(VALU_DEP_2)
	v_add_f64_e32 v[103:104], v[103:104], v[119:120]
	v_fma_f64 v[109:110], v[78:79], s[36:37], v[107:108]
	v_fma_f64 v[107:108], v[78:79], s[36:37], -v[107:108]
	s_delay_alu instid0(VALU_DEP_2) | instskip(SKIP_1) | instid1(VALU_DEP_3)
	v_add_f64_e32 v[99:100], v[109:110], v[99:100]
	v_mul_f64_e32 v[109:110], s[36:37], v[125:126]
	v_add_f64_e32 v[103:104], v[107:108], v[103:104]
	s_delay_alu instid0(VALU_DEP_2) | instskip(SKIP_1) | instid1(VALU_DEP_2)
	v_fma_f64 v[227:228], v[127:128], s[48:49], v[109:110]
	v_fma_f64 v[107:108], v[127:128], s[24:25], v[109:110]
	v_add_f64_e32 v[101:102], v[227:228], v[101:102]
	v_mul_f64_e32 v[227:228], s[50:51], v[131:132]
	s_delay_alu instid0(VALU_DEP_3) | instskip(NEXT) | instid1(VALU_DEP_2)
	v_add_f64_e32 v[105:106], v[107:108], v[105:106]
	v_fma_f64 v[229:230], v[133:134], s[26:27], v[227:228]
	v_fma_f64 v[107:108], v[133:134], s[26:27], -v[227:228]
	s_delay_alu instid0(VALU_DEP_2) | instskip(SKIP_1) | instid1(VALU_DEP_3)
	v_add_f64_e32 v[99:100], v[229:230], v[99:100]
	v_mul_f64_e32 v[229:230], s[26:27], v[137:138]
	v_add_f64_e32 v[103:104], v[107:108], v[103:104]
	s_delay_alu instid0(VALU_DEP_2) | instskip(SKIP_1) | instid1(VALU_DEP_2)
	v_fma_f64 v[231:232], v[139:140], s[12:13], v[229:230]
	v_fma_f64 v[107:108], v[139:140], s[50:51], v[229:230]
	;; [unrolled: 13-line block ×3, first 2 shown]
	v_add_f64_e32 v[101:102], v[235:236], v[101:102]
	v_mul_f64_e32 v[235:236], s[20:21], v[155:156]
	s_delay_alu instid0(VALU_DEP_3) | instskip(NEXT) | instid1(VALU_DEP_2)
	v_add_f64_e32 v[105:106], v[107:108], v[105:106]
	v_fma_f64 v[237:238], v[157:158], s[30:31], v[235:236]
	v_fma_f64 v[107:108], v[157:158], s[30:31], -v[235:236]
	s_delay_alu instid0(VALU_DEP_2) | instskip(SKIP_1) | instid1(VALU_DEP_3)
	v_add_f64_e32 v[99:100], v[237:238], v[99:100]
	v_mul_f64_e32 v[237:238], s[30:31], v[161:162]
	v_add_f64_e32 v[103:104], v[107:108], v[103:104]
	v_fma_f64 v[107:108], v[58:59], s[38:39], v[111:112]
	v_fma_f64 v[111:112], v[58:59], s[38:39], -v[111:112]
	s_delay_alu instid0(VALU_DEP_4) | instskip(SKIP_1) | instid1(VALU_DEP_4)
	v_fma_f64 v[109:110], v[163:164], s[20:21], v[237:238]
	v_fma_f64 v[239:240], v[163:164], s[46:47], v[237:238]
	v_add_f64_e32 v[107:108], v[107:108], v[121:122]
	s_delay_alu instid0(VALU_DEP_4) | instskip(SKIP_4) | instid1(VALU_DEP_4)
	v_add_f64_e32 v[72:73], v[111:112], v[72:73]
	v_fma_f64 v[111:112], v[74:75], s[40:41], v[115:116]
	v_add_f64_e32 v[105:106], v[109:110], v[105:106]
	v_fma_f64 v[109:110], v[74:75], s[52:53], v[115:116]
	v_add_f64_e32 v[101:102], v[239:240], v[101:102]
	v_add_f64_e32 v[70:71], v[111:112], v[70:71]
	s_delay_alu instid0(VALU_DEP_3) | instskip(SKIP_1) | instid1(VALU_DEP_1)
	v_add_f64_e32 v[109:110], v[109:110], v[113:114]
	v_mul_f64_e32 v[113:114], s[14:15], v[123:124]
	v_fma_f64 v[117:118], v[78:79], s[28:29], v[113:114]
	v_fma_f64 v[111:112], v[78:79], s[28:29], -v[113:114]
	s_delay_alu instid0(VALU_DEP_2) | instskip(SKIP_1) | instid1(VALU_DEP_3)
	v_add_f64_e32 v[107:108], v[117:118], v[107:108]
	v_mul_f64_e32 v[117:118], s[28:29], v[125:126]
	v_add_f64_e32 v[72:73], v[111:112], v[72:73]
	s_delay_alu instid0(VALU_DEP_2) | instskip(SKIP_1) | instid1(VALU_DEP_2)
	v_fma_f64 v[119:120], v[127:128], s[44:45], v[117:118]
	v_fma_f64 v[111:112], v[127:128], s[14:15], v[117:118]
	v_add_f64_e32 v[109:110], v[119:120], v[109:110]
	v_mul_f64_e32 v[119:120], s[48:49], v[131:132]
	s_delay_alu instid0(VALU_DEP_3) | instskip(NEXT) | instid1(VALU_DEP_2)
	v_add_f64_e32 v[70:71], v[111:112], v[70:71]
	v_fma_f64 v[121:122], v[133:134], s[36:37], v[119:120]
	v_fma_f64 v[111:112], v[133:134], s[36:37], -v[119:120]
	s_delay_alu instid0(VALU_DEP_2) | instskip(SKIP_1) | instid1(VALU_DEP_3)
	v_add_f64_e32 v[107:108], v[121:122], v[107:108]
	v_mul_f64_e32 v[121:122], s[36:37], v[137:138]
	v_add_f64_e32 v[72:73], v[111:112], v[72:73]
	v_mul_f64_e32 v[137:138], s[34:35], v[161:162]
	s_delay_alu instid0(VALU_DEP_3) | instskip(SKIP_1) | instid1(VALU_DEP_3)
	v_fma_f64 v[123:124], v[139:140], s[24:25], v[121:122]
	v_fma_f64 v[111:112], v[139:140], s[48:49], v[121:122]
	;; [unrolled: 1-line block ×3, first 2 shown]
	s_delay_alu instid0(VALU_DEP_3) | instskip(SKIP_1) | instid1(VALU_DEP_4)
	v_add_f64_e32 v[109:110], v[123:124], v[109:110]
	v_mul_f64_e32 v[123:124], s[20:21], v[143:144]
	v_add_f64_e32 v[70:71], v[111:112], v[70:71]
	s_delay_alu instid0(VALU_DEP_2) | instskip(SKIP_1) | instid1(VALU_DEP_2)
	v_fma_f64 v[125:126], v[145:146], s[30:31], v[123:124]
	v_fma_f64 v[111:112], v[145:146], s[30:31], -v[123:124]
	v_add_f64_e32 v[107:108], v[125:126], v[107:108]
	v_mul_f64_e32 v[125:126], s[30:31], v[149:150]
	s_delay_alu instid0(VALU_DEP_3) | instskip(NEXT) | instid1(VALU_DEP_2)
	v_add_f64_e32 v[72:73], v[111:112], v[72:73]
	v_fma_f64 v[131:132], v[151:152], s[46:47], v[125:126]
	v_fma_f64 v[111:112], v[151:152], s[20:21], v[125:126]
	s_delay_alu instid0(VALU_DEP_2) | instskip(SKIP_1) | instid1(VALU_DEP_3)
	v_add_f64_e32 v[109:110], v[131:132], v[109:110]
	v_mul_f64_e32 v[131:132], s[42:43], v[155:156]
	v_add_f64_e32 v[111:112], v[111:112], v[70:71]
	s_delay_alu instid0(VALU_DEP_2) | instskip(SKIP_1) | instid1(VALU_DEP_2)
	v_fma_f64 v[70:71], v[157:158], s[34:35], -v[131:132]
	v_fma_f64 v[143:144], v[157:158], s[34:35], v[131:132]
	v_add_f64_e32 v[70:71], v[70:71], v[72:73]
	s_delay_alu instid0(VALU_DEP_4) | instskip(SKIP_4) | instid1(VALU_DEP_4)
	v_add_f64_e32 v[72:73], v[113:114], v[111:112]
	v_fma_f64 v[111:112], v[58:59], s[28:29], -v[207:208]
	v_fma_f64 v[113:114], v[163:164], s[48:49], v[225:226]
	v_add_f64_e32 v[107:108], v[143:144], v[107:108]
	v_fma_f64 v[143:144], v[163:164], s[22:23], v[137:138]
	v_add_f64_e32 v[68:69], v[111:112], v[68:69]
	v_fma_f64 v[111:112], v[74:75], s[44:45], v[209:210]
	s_delay_alu instid0(VALU_DEP_3)
	v_add_f64_e32 v[109:110], v[143:144], v[109:110]
	ds_store_b128 v82, v[87:90] offset:416
	ds_store_b128 v82, v[91:94] offset:624
	;; [unrolled: 1-line block ×7, first 2 shown]
	v_add_f64_e32 v[66:67], v[111:112], v[66:67]
	v_fma_f64 v[111:112], v[78:79], s[38:39], -v[211:212]
	s_delay_alu instid0(VALU_DEP_1) | instskip(SKIP_1) | instid1(VALU_DEP_1)
	v_add_f64_e32 v[68:69], v[111:112], v[68:69]
	v_fma_f64 v[111:112], v[127:128], s[40:41], v[213:214]
	v_add_f64_e32 v[66:67], v[111:112], v[66:67]
	v_fma_f64 v[111:112], v[133:134], s[34:35], -v[215:216]
	s_delay_alu instid0(VALU_DEP_1) | instskip(SKIP_1) | instid1(VALU_DEP_1)
	v_add_f64_e32 v[68:69], v[111:112], v[68:69]
	v_fma_f64 v[111:112], v[139:140], s[22:23], v[217:218]
	;; [unrolled: 5-line block ×3, first 2 shown]
	v_add_f64_e32 v[111:112], v[111:112], v[66:67]
	v_fma_f64 v[66:67], v[157:158], s[36:37], -v[223:224]
	s_delay_alu instid0(VALU_DEP_1) | instskip(NEXT) | instid1(VALU_DEP_3)
	v_add_f64_e32 v[66:67], v[66:67], v[68:69]
	v_add_f64_e32 v[68:69], v[113:114], v[111:112]
	v_fma_f64 v[111:112], v[58:59], s[26:27], -v[187:188]
	v_fma_f64 v[113:114], v[163:164], s[14:15], v[205:206]
	ds_store_b128 v82, v[66:69] offset:1872
	v_add_f64_e32 v[64:65], v[111:112], v[64:65]
	v_fma_f64 v[111:112], v[74:75], s[12:13], v[189:190]
	s_delay_alu instid0(VALU_DEP_1) | instskip(SKIP_1) | instid1(VALU_DEP_1)
	v_add_f64_e32 v[62:63], v[111:112], v[62:63]
	v_fma_f64 v[111:112], v[78:79], s[30:31], -v[191:192]
	v_add_f64_e32 v[64:65], v[111:112], v[64:65]
	v_fma_f64 v[111:112], v[127:128], s[46:47], v[193:194]
	s_delay_alu instid0(VALU_DEP_1) | instskip(SKIP_1) | instid1(VALU_DEP_1)
	v_add_f64_e32 v[62:63], v[111:112], v[62:63]
	v_fma_f64 v[111:112], v[133:134], s[38:39], -v[195:196]
	;; [unrolled: 5-line block ×4, first 2 shown]
	v_add_f64_e32 v[62:63], v[62:63], v[64:65]
	s_delay_alu instid0(VALU_DEP_3)
	v_add_f64_e32 v[64:65], v[113:114], v[111:112]
	v_fma_f64 v[111:112], v[58:59], s[30:31], -v[167:168]
	v_fma_f64 v[58:59], v[58:59], s[36:37], -v[60:61]
	v_fma_f64 v[60:61], v[74:75], s[24:25], v[76:77]
	v_fma_f64 v[76:77], v[127:128], s[22:23], v[129:130]
	;; [unrolled: 1-line block ×3, first 2 shown]
	v_add_f64_e32 v[56:57], v[111:112], v[56:57]
	v_fma_f64 v[111:112], v[74:75], s[20:21], v[169:170]
	v_fma_f64 v[74:75], v[78:79], s[34:35], -v[80:81]
	v_add_f64_e32 v[50:51], v[58:59], v[50:51]
	v_add_f64_e32 v[52:53], v[60:61], v[52:53]
	v_fma_f64 v[58:59], v[133:134], s[30:31], -v[135:136]
	v_fma_f64 v[60:61], v[139:140], s[20:21], v[141:142]
	v_add_f64_e32 v[54:55], v[111:112], v[54:55]
	v_fma_f64 v[111:112], v[78:79], s[26:27], -v[171:172]
	v_add_f64_e32 v[50:51], v[74:75], v[50:51]
	v_add_f64_e32 v[52:53], v[76:77], v[52:53]
	v_fma_f64 v[74:75], v[145:146], s[28:29], -v[147:148]
	v_fma_f64 v[76:77], v[151:152], s[14:15], v[153:154]
	v_add_f64_e32 v[56:57], v[111:112], v[56:57]
	v_fma_f64 v[111:112], v[127:128], s[12:13], v[173:174]
	v_add_f64_e32 v[50:51], v[58:59], v[50:51]
	v_add_f64_e32 v[52:53], v[60:61], v[52:53]
	v_fma_f64 v[58:59], v[157:158], s[26:27], -v[159:160]
	v_fma_f64 v[60:61], v[163:164], s[12:13], v[165:166]
	v_add_f64_e32 v[54:55], v[111:112], v[54:55]
	v_fma_f64 v[111:112], v[133:134], s[28:29], -v[175:176]
	v_add_f64_e32 v[50:51], v[74:75], v[50:51]
	v_add_f64_e32 v[52:53], v[76:77], v[52:53]
	s_delay_alu instid0(VALU_DEP_3) | instskip(SKIP_1) | instid1(VALU_DEP_4)
	v_add_f64_e32 v[56:57], v[111:112], v[56:57]
	v_fma_f64 v[111:112], v[139:140], s[44:45], v[177:178]
	v_add_f64_e32 v[50:51], v[58:59], v[50:51]
	s_delay_alu instid0(VALU_DEP_4) | instskip(NEXT) | instid1(VALU_DEP_3)
	v_add_f64_e32 v[52:53], v[60:61], v[52:53]
	v_add_f64_e32 v[54:55], v[111:112], v[54:55]
	v_fma_f64 v[111:112], v[145:146], s[34:35], -v[179:180]
	s_delay_alu instid0(VALU_DEP_1) | instskip(SKIP_1) | instid1(VALU_DEP_1)
	v_add_f64_e32 v[56:57], v[111:112], v[56:57]
	v_fma_f64 v[111:112], v[151:152], s[42:43], v[181:182]
	v_add_f64_e32 v[111:112], v[111:112], v[54:55]
	v_fma_f64 v[54:55], v[157:158], s[38:39], -v[183:184]
	s_delay_alu instid0(VALU_DEP_1) | instskip(NEXT) | instid1(VALU_DEP_3)
	v_add_f64_e32 v[54:55], v[54:55], v[56:57]
	v_add_f64_e32 v[56:57], v[113:114], v[111:112]
	ds_store_b128 v82, v[62:65] offset:2080
	ds_store_b128 v82, v[54:57] offset:2288
	;; [unrolled: 1-line block ×4, first 2 shown]
	ds_store_b128 v82, v[8:11]
	global_wb scope:SCOPE_SE
	s_wait_dscnt 0x0
	s_barrier_signal -1
	s_barrier_wait -1
	global_inv scope:SCOPE_SE
	ds_load_b128 v[1:4], v19
	ds_load_b128 v[8:11], v5 offset:208
	ds_load_b128 v[12:15], v5 offset:416
	s_wait_dscnt 0x2
	global_store_b128 v[16:17], v[1:4], off
	ds_load_b128 v[1:4], v5 offset:624
	ds_load_b128 v[16:19], v5 offset:832
	s_wait_dscnt 0x3
	global_store_b128 v[22:23], v[8:11], off
	;; [unrolled: 4-line block ×3, first 2 shown]
	s_wait_dscnt 0x3
	global_store_b128 v[28:29], v[1:4], off
	ds_load_b128 v[0:3], v5 offset:1456
	ds_load_b128 v[12:15], v5 offset:1664
	s_wait_dscnt 0x4
	global_store_b128 v[30:31], v[16:19], off
	ds_load_b128 v[16:19], v5 offset:1872
	ds_load_b128 v[26:29], v5 offset:2080
	s_wait_dscnt 0x5
	global_store_b128 v[32:33], v[8:11], off
	s_wait_dscnt 0x4
	global_store_b128 v[34:35], v[22:25], off
	ds_load_b128 v[8:11], v5 offset:2288
	ds_load_b128 v[22:25], v5 offset:2496
	v_add_co_u32 v30, s0, v6, v42
	v_lshlrev_b64_e32 v[32:33], 4, v[20:21]
	s_wait_alu 0xf1ff
	v_add_co_ci_u32_e64 v31, s0, v7, v43, s0
	v_add_co_u32 v34, s0, v6, v44
	s_wait_alu 0xf1ff
	v_add_co_ci_u32_e64 v35, s0, v7, v45, s0
	v_add_co_u32 v32, s0, v6, v32
	s_wait_alu 0xf1ff
	v_add_co_ci_u32_e64 v33, s0, v7, v33, s0
	s_wait_dscnt 0x5
	global_store_b128 v[38:39], v[0:3], off
	s_wait_dscnt 0x4
	global_store_b128 v[36:37], v[12:15], off
	s_wait_dscnt 0x3
	global_store_b128 v[40:41], v[16:19], off
	s_wait_dscnt 0x2
	global_store_b128 v[30:31], v[26:29], off
	s_wait_dscnt 0x1
	global_store_b128 v[34:35], v[8:11], off
	s_wait_dscnt 0x0
	global_store_b128 v[32:33], v[22:25], off
	s_and_saveexec_b32 s0, vcc_lo
	s_cbranch_execz .LBB0_2
; %bb.1:
	ds_load_b128 v[0:3], v5 offset:2704
	v_add_nc_u32_e32 v20, s3, v20
	s_delay_alu instid0(VALU_DEP_1) | instskip(NEXT) | instid1(VALU_DEP_1)
	v_lshlrev_b64_e32 v[4:5], 4, v[20:21]
	v_add_co_u32 v4, vcc_lo, v6, v4
	s_wait_alu 0xfffd
	s_delay_alu instid0(VALU_DEP_2)
	v_add_co_ci_u32_e32 v5, vcc_lo, v7, v5, vcc_lo
	s_wait_dscnt 0x0
	global_store_b128 v[4:5], v[0:3], off
.LBB0_2:
	s_nop 0
	s_sendmsg sendmsg(MSG_DEALLOC_VGPRS)
	s_endpgm
	.section	.rodata,"a",@progbits
	.p2align	6, 0x0
	.amdhsa_kernel fft_rtc_back_len169_factors_13_13_wgs_156_tpt_13_dp_op_CI_CI_sbrc_erc_z_xy_aligned
		.amdhsa_group_segment_fixed_size 0
		.amdhsa_private_segment_fixed_size 0
		.amdhsa_kernarg_size 104
		.amdhsa_user_sgpr_count 2
		.amdhsa_user_sgpr_dispatch_ptr 0
		.amdhsa_user_sgpr_queue_ptr 0
		.amdhsa_user_sgpr_kernarg_segment_ptr 1
		.amdhsa_user_sgpr_dispatch_id 0
		.amdhsa_user_sgpr_private_segment_size 0
		.amdhsa_wavefront_size32 1
		.amdhsa_uses_dynamic_stack 0
		.amdhsa_enable_private_segment 0
		.amdhsa_system_sgpr_workgroup_id_x 1
		.amdhsa_system_sgpr_workgroup_id_y 0
		.amdhsa_system_sgpr_workgroup_id_z 0
		.amdhsa_system_sgpr_workgroup_info 0
		.amdhsa_system_vgpr_workitem_id 0
		.amdhsa_next_free_vgpr 241
		.amdhsa_next_free_sgpr 54
		.amdhsa_reserve_vcc 1
		.amdhsa_float_round_mode_32 0
		.amdhsa_float_round_mode_16_64 0
		.amdhsa_float_denorm_mode_32 3
		.amdhsa_float_denorm_mode_16_64 3
		.amdhsa_fp16_overflow 0
		.amdhsa_workgroup_processor_mode 1
		.amdhsa_memory_ordered 1
		.amdhsa_forward_progress 0
		.amdhsa_round_robin_scheduling 0
		.amdhsa_exception_fp_ieee_invalid_op 0
		.amdhsa_exception_fp_denorm_src 0
		.amdhsa_exception_fp_ieee_div_zero 0
		.amdhsa_exception_fp_ieee_overflow 0
		.amdhsa_exception_fp_ieee_underflow 0
		.amdhsa_exception_fp_ieee_inexact 0
		.amdhsa_exception_int_div_zero 0
	.end_amdhsa_kernel
	.text
.Lfunc_end0:
	.size	fft_rtc_back_len169_factors_13_13_wgs_156_tpt_13_dp_op_CI_CI_sbrc_erc_z_xy_aligned, .Lfunc_end0-fft_rtc_back_len169_factors_13_13_wgs_156_tpt_13_dp_op_CI_CI_sbrc_erc_z_xy_aligned
                                        ; -- End function
	.section	.AMDGPU.csdata,"",@progbits
; Kernel info:
; codeLenInByte = 10404
; NumSgprs: 56
; NumVgprs: 241
; ScratchSize: 0
; MemoryBound: 0
; FloatMode: 240
; IeeeMode: 1
; LDSByteSize: 0 bytes/workgroup (compile time only)
; SGPRBlocks: 6
; VGPRBlocks: 30
; NumSGPRsForWavesPerEU: 56
; NumVGPRsForWavesPerEU: 241
; Occupancy: 5
; WaveLimiterHint : 1
; COMPUTE_PGM_RSRC2:SCRATCH_EN: 0
; COMPUTE_PGM_RSRC2:USER_SGPR: 2
; COMPUTE_PGM_RSRC2:TRAP_HANDLER: 0
; COMPUTE_PGM_RSRC2:TGID_X_EN: 1
; COMPUTE_PGM_RSRC2:TGID_Y_EN: 0
; COMPUTE_PGM_RSRC2:TGID_Z_EN: 0
; COMPUTE_PGM_RSRC2:TIDIG_COMP_CNT: 0
	.text
	.p2alignl 7, 3214868480
	.fill 96, 4, 3214868480
	.type	__hip_cuid_108f1e617989e8e4,@object ; @__hip_cuid_108f1e617989e8e4
	.section	.bss,"aw",@nobits
	.globl	__hip_cuid_108f1e617989e8e4
__hip_cuid_108f1e617989e8e4:
	.byte	0                               ; 0x0
	.size	__hip_cuid_108f1e617989e8e4, 1

	.ident	"AMD clang version 19.0.0git (https://github.com/RadeonOpenCompute/llvm-project roc-6.4.0 25133 c7fe45cf4b819c5991fe208aaa96edf142730f1d)"
	.section	".note.GNU-stack","",@progbits
	.addrsig
	.addrsig_sym __hip_cuid_108f1e617989e8e4
	.amdgpu_metadata
---
amdhsa.kernels:
  - .args:
      - .actual_access:  read_only
        .address_space:  global
        .offset:         0
        .size:           8
        .value_kind:     global_buffer
      - .offset:         8
        .size:           8
        .value_kind:     by_value
      - .actual_access:  read_only
        .address_space:  global
        .offset:         16
        .size:           8
        .value_kind:     global_buffer
      - .actual_access:  read_only
        .address_space:  global
        .offset:         24
        .size:           8
        .value_kind:     global_buffer
      - .actual_access:  read_only
        .address_space:  global
        .offset:         32
        .size:           8
        .value_kind:     global_buffer
      - .offset:         40
        .size:           8
        .value_kind:     by_value
      - .actual_access:  read_only
        .address_space:  global
        .offset:         48
        .size:           8
        .value_kind:     global_buffer
      - .actual_access:  read_only
        .address_space:  global
        .offset:         56
        .size:           8
        .value_kind:     global_buffer
      - .offset:         64
        .size:           4
        .value_kind:     by_value
      - .actual_access:  read_only
        .address_space:  global
        .offset:         72
        .size:           8
        .value_kind:     global_buffer
      - .actual_access:  read_only
        .address_space:  global
        .offset:         80
        .size:           8
        .value_kind:     global_buffer
      - .actual_access:  read_only
        .address_space:  global
        .offset:         88
        .size:           8
        .value_kind:     global_buffer
      - .actual_access:  write_only
        .address_space:  global
        .offset:         96
        .size:           8
        .value_kind:     global_buffer
    .group_segment_fixed_size: 0
    .kernarg_segment_align: 8
    .kernarg_segment_size: 104
    .language:       OpenCL C
    .language_version:
      - 2
      - 0
    .max_flat_workgroup_size: 156
    .name:           fft_rtc_back_len169_factors_13_13_wgs_156_tpt_13_dp_op_CI_CI_sbrc_erc_z_xy_aligned
    .private_segment_fixed_size: 0
    .sgpr_count:     56
    .sgpr_spill_count: 0
    .symbol:         fft_rtc_back_len169_factors_13_13_wgs_156_tpt_13_dp_op_CI_CI_sbrc_erc_z_xy_aligned.kd
    .uniform_work_group_size: 1
    .uses_dynamic_stack: false
    .vgpr_count:     241
    .vgpr_spill_count: 0
    .wavefront_size: 32
    .workgroup_processor_mode: 1
amdhsa.target:   amdgcn-amd-amdhsa--gfx1201
amdhsa.version:
  - 1
  - 2
...

	.end_amdgpu_metadata
